;; amdgpu-corpus repo=ROCm/aiter kind=harvested arch=n/a opt=n/a

/root/src/amdgpu-assembly/repos/ROCm__aiter/hsa/gfx942/fmoe/gelu/fmoe_int8_g1u0_subGU_128_gelu.co:	file format elf64-amdgpu

Disassembly of section .text:

0000000000002b00 <fmoe_int8_g1u0_subGU_128_gelu>:
	s_and_b32 s1, s1, 0xffff                                   // 000000002B00: 8601FF01 0000FFFF
	s_load_dwordx2 s[8:9], s[0:1], 0x0                         // 000000002B08: C0060200 00000000
	s_load_dwordx2 s[20:21], s[0:1], 0x10                      // 000000002B10: C0060500 00000010
	s_load_dwordx2 s[24:25], s[0:1], 0x20                      // 000000002B18: C0060600 00000020
	s_load_dwordx2 s[50:51], s[0:1], 0x30                      // 000000002B20: C0060C80 00000030
	s_load_dwordx2 s[12:13], s[0:1], 0x40                      // 000000002B28: C0060300 00000040
	s_load_dwordx2 s[28:29], s[0:1], 0x50                      // 000000002B30: C0060700 00000050
	s_load_dwordx2 s[32:33], s[0:1], 0x60                      // 000000002B38: C0060800 00000060
	s_load_dwordx2 s[16:17], s[0:1], 0x70                      // 000000002B40: C0060400 00000070
	s_load_dwordx2 s[36:37], s[0:1], 0x80                      // 000000002B48: C0060900 00000080
	s_load_dwordx2 s[44:45], s[0:1], 0x90                      // 000000002B50: C0060B00 00000090
	s_load_dwordx2 s[40:41], s[0:1], 0xa0                      // 000000002B58: C0060A00 000000A0
	s_load_dwordx2 s[46:47], s[0:1], 0xb0                      // 000000002B60: C0060B80 000000B0
	s_load_dword s64, s[0:1], 0xc0                             // 000000002B68: C0021000 000000C0
	s_load_dword s65, s[0:1], 0xd0                             // 000000002B70: C0021040 000000D0
	s_load_dword s66, s[0:1], 0xe0                             // 000000002B78: C0021080 000000E0
	s_load_dword s67, s[0:1], 0xf0                             // 000000002B80: C00210C0 000000F0
	s_load_dword s68, s[0:1], 0x100                            // 000000002B88: C0021100 00000100
	s_load_dword s69, s[0:1], 0x110                            // 000000002B90: C0021140 00000110
	s_load_dword s70, s[0:1], 0x120                            // 000000002B98: C0021180 00000120
	s_load_dword s71, s[0:1], 0x130                            // 000000002BA0: C00211C0 00000130
	s_load_dword s72, s[0:1], 0x140                            // 000000002BA8: C0021200 00000140
	s_load_dword s73, s[0:1], 0x150                            // 000000002BB0: C0021240 00000150
	s_load_dword s74, s[0:1], 0x160                            // 000000002BB8: C0021280 00000160
	s_load_dword s75, s[0:1], 0x170                            // 000000002BC0: C00212C0 00000170
	s_load_dword s76, s[0:1], 0x180                            // 000000002BC8: C0021300 00000180
	s_load_dword s63, s[0:1], 0x190                            // 000000002BD0: C0020FC0 00000190
	v_lshrrev_b32_e32 v1, 10, v0                               // 000000002BD8: 2002008A
	v_lshrrev_b32_e32 v2, 10, v1                               // 000000002BDC: 2004028A
	v_and_b32_e32 v2, 0x3ff, v2                                // 000000002BE0: 260404FF 000003FF
	v_and_b32_e32 v1, 0x3ff, v1                                // 000000002BE8: 260202FF 000003FF
	v_and_b32_e32 v0, 0x3ff, v0                                // 000000002BF0: 260000FF 000003FF
	v_lshrrev_b32_e32 v3, 6, v0                                // 000000002BF8: 20060086
	v_and_b32_e32 v0, 63, v0                                   // 000000002BFC: 260000BF
	s_mov_b32 s2, s2                                           // 000000002C00: BE820002
	s_mov_b32 s3, s3                                           // 000000002C04: BE830003
	s_mov_b32 s4, s4                                           // 000000002C08: BE840004
	v_readfirstlane_b32 s7, v3                                 // 000000002C0C: 7E0E0503
	s_waitcnt lgkmcnt(0)                                       // 000000002C10: BF8CC07F
	s_and_b32 s51, s51, 0xffff                                 // 000000002C14: 8633FF33 0000FFFF
	s_load_dword s50, s[50:51], 0x0                            // 000000002C1C: C0020C99 00000000
	s_and_b32 s45, s45, 0xffff                                 // 000000002C24: 862DFF2D 0000FFFF
	s_and_b32 s47, s47, 0xffff                                 // 000000002C2C: 862FFF2F 0000FFFF
	s_and_b32 s9, s9, 0xffff                                   // 000000002C34: 8609FF09 0000FFFF
	s_mul_i32 s60, s66, s68                                    // 000000002C3C: 923C4442
	s_mul_i32 s60, s63, s60                                    // 000000002C40: 923C3C3F
	s_mul_i32 s61, s66, 4                                      // 000000002C44: 923D8442
	s_mul_i32 s61, s63, s61                                    // 000000002C48: 923D3D3F
	s_mov_b32 s22, s60                                         // 000000002C4C: BE96003C
	s_mov_b32 s26, 0x80000000                                  // 000000002C50: BE9A00FF 80000000
	s_mov_b32 s14, 0x80000000                                  // 000000002C58: BE8E00FF 80000000
	s_mov_b32 s42, 0x80000000                                  // 000000002C60: BEAA00FF 80000000
	s_mov_b32 s30, s61                                         // 000000002C68: BE9E003D
	s_mov_b32 s34, 0x200                                       // 000000002C6C: BEA200FF 00000200
	s_mov_b32 s38, 0x200                                       // 000000002C74: BEA600FF 00000200
	s_mov_b32 s18, 0x80000000                                  // 000000002C7C: BE9200FF 80000000
	s_mov_b32 s23, 0x20000                                     // 000000002C84: BE9700FF 00020000
	s_mov_b32 s27, 0x20000                                     // 000000002C8C: BE9B00FF 00020000
	s_mov_b32 s15, 0x20000                                     // 000000002C94: BE8F00FF 00020000
	s_mov_b32 s43, 0x20000                                     // 000000002C9C: BEAB00FF 00020000
	s_mov_b32 s31, 0x20000                                     // 000000002CA4: BE9F00FF 00020000
	s_mov_b32 s35, 0x20000                                     // 000000002CAC: BEA300FF 00020000
	s_mov_b32 s39, 0x20000                                     // 000000002CB4: BEA700FF 00020000
	s_mov_b32 s19, 0x20000                                     // 000000002CBC: BE9300FF 00020000
	s_and_b32 s21, s21, 0xffff                                 // 000000002CC4: 8615FF15 0000FFFF
	s_and_b32 s25, s25, 0xffff                                 // 000000002CCC: 8619FF19 0000FFFF
	s_and_b32 s13, s13, 0xffff                                 // 000000002CD4: 860DFF0D 0000FFFF
	s_and_b32 s41, s41, 0xffff                                 // 000000002CDC: 8629FF29 0000FFFF
	s_and_b32 s29, s29, 0xffff                                 // 000000002CE4: 861DFF1D 0000FFFF
	s_and_b32 s33, s33, 0xffff                                 // 000000002CEC: 8621FF21 0000FFFF
	s_and_b32 s37, s37, 0xffff                                 // 000000002CF4: 8625FF25 0000FFFF
	s_and_b32 s17, s17, 0xffff                                 // 000000002CFC: 8611FF11 0000FFFF
	s_or_b32 s21, s21, 0x40000                                 // 000000002D04: 8715FF15 00040000
	s_or_b32 s25, s25, 0x40000                                 // 000000002D0C: 8719FF19 00040000
	s_or_b32 s13, s13, 0x40000                                 // 000000002D14: 870DFF0D 00040000
	s_or_b32 s41, s41, 0x40000                                 // 000000002D1C: 8729FF29 00040000
	s_or_b32 s29, s29, 0x40000                                 // 000000002D24: 871DFF1D 00040000
	s_or_b32 s33, s33, 0x40000                                 // 000000002D2C: 8721FF21 00040000
	s_or_b32 s37, s37, 0x40000                                 // 000000002D34: 8725FF25 00040000
	s_or_b32 s17, s17, 0x40000                                 // 000000002D3C: 8711FF11 00040000
	v_accvgpr_write_b32 a63, 0                                 // 000000002D44: D3D9403F 18000080
	v_mov_b32_e32 v207, 0                                      // 000000002D4C: 7F9E0280
	s_waitcnt lgkmcnt(0)                                       // 000000002D50: BF8CC07F
	s_mul_i32 s60, s3, 32                                      // 000000002D54: 923CA003
	s_cmp_lt_i32 s60, s50                                      // 000000002D58: BF04323C
	s_cbranch_scc0 label_1203                                  // 000000002D5C: BF84116B
	s_mov_b32 s80, 0                                           // 000000002D60: BED00080
	s_mov_b32 s81, s64                                         // 000000002D64: BED10040
	s_mul_i32 s60, s3, 4                                       // 000000002D68: 923C8403
	s_add_u32 s46, s60, s46                                    // 000000002D6C: 802E2E3C
	s_addc_u32 s47, 0, s47                                     // 000000002D70: 822F2F80
	s_load_dword s5, s[46:47], 0x0                             // 000000002D74: C0020157 00000000
	s_mul_i32 s60, s3, 32                                      // 000000002D7C: 923CA003
	s_mul_i32 s60, 4, s60                                      // 000000002D80: 923C3C84
	v_and_b32_e32 v42, 15, v0                                  // 000000002D84: 2654008F
	v_lshlrev_b32_e32 v42, 2, v42                              // 000000002D88: 24545482
	v_add_u32_e32 v42, s60, v42                                // 000000002D8C: 6854543C
	v_mov_b32_e32 v43, 0                                       // 000000002D90: 7E560280
	global_load_dword v6, v42, s[44:45]                        // 000000002D94: DC508000 062C002A
	v_add_u32_e32 v42, 64, v42                                 // 000000002D9C: 685454C0
	global_load_dword v7, v42, s[44:45]                        // 000000002DA0: DC508000 072C002A
	s_mul_i32 s60, s3, 32                                      // 000000002DA8: 923CA003
	s_add_u32 s60, s7, s60                                     // 000000002DAC: 803C3C07
	s_mul_i32 s60, 4, s60                                      // 000000002DB0: 923C3C84
	s_add_u32 s44, s60, s44                                    // 000000002DB4: 802C2C3C
	s_addc_u32 s45, 0, s45                                     // 000000002DB8: 822D2D80
	s_load_dword s82, s[44:45], 0x0                            // 000000002DBC: C0021496 00000000
	s_load_dword s83, s[44:45], 0x10                           // 000000002DC4: C00214D6 00000010
	s_load_dword s84, s[44:45], 0x20                           // 000000002DCC: C0021516 00000020
	s_load_dword s85, s[44:45], 0x30                           // 000000002DD4: C0021556 00000030
	s_load_dword s86, s[44:45], 0x40                           // 000000002DDC: C0021596 00000040
	s_load_dword s87, s[44:45], 0x50                           // 000000002DE4: C00215D6 00000050
	s_load_dword s88, s[44:45], 0x60                           // 000000002DEC: C0021616 00000060
	s_load_dword s89, s[44:45], 0x70                           // 000000002DF4: C0021656 00000070
	s_waitcnt lgkmcnt(0)                                       // 000000002DFC: BF8CC07F
	v_lshlrev_b32_e32 v42, 2, v0                               // 000000002E00: 24540082
	s_lshr_b32 s61, s82, 24                                    // 000000002E04: 8F3D9852
	s_mul_i32 s61, s61, s68                                    // 000000002E08: 923D443D
	s_mul_i32 s61, s61, s66                                    // 000000002E0C: 923D423D
	s_and_b32 s82, s82, 0xffffff                               // 000000002E10: 8652FF52 00FFFFFF
	s_mul_i32 s60, s82, s68                                    // 000000002E18: 923C4452
	s_add_u32 s60, s61, s60                                    // 000000002E1C: 803C3C3D
	v_add_u32_e64 v24, v42, s60                                // 000000002E20: D1340018 0000792A
	s_lshr_b32 s61, s83, 24                                    // 000000002E28: 8F3D9853
	s_mul_i32 s61, s61, s68                                    // 000000002E2C: 923D443D
	s_mul_i32 s61, s61, s66                                    // 000000002E30: 923D423D
	s_and_b32 s83, s83, 0xffffff                               // 000000002E34: 8653FF53 00FFFFFF
	s_mul_i32 s60, s83, s68                                    // 000000002E3C: 923C4453
	s_add_u32 s60, s61, s60                                    // 000000002E40: 803C3C3D
	v_add_u32_e64 v25, v42, s60                                // 000000002E44: D1340019 0000792A
	s_lshr_b32 s61, s84, 24                                    // 000000002E4C: 8F3D9854
	s_mul_i32 s61, s61, s68                                    // 000000002E50: 923D443D
	s_mul_i32 s61, s61, s66                                    // 000000002E54: 923D423D
	s_and_b32 s84, s84, 0xffffff                               // 000000002E58: 8654FF54 00FFFFFF
	s_mul_i32 s60, s84, s68                                    // 000000002E60: 923C4454
	s_add_u32 s60, s61, s60                                    // 000000002E64: 803C3C3D
	v_add_u32_e64 v26, v42, s60                                // 000000002E68: D134001A 0000792A
	s_lshr_b32 s61, s85, 24                                    // 000000002E70: 8F3D9855
	s_mul_i32 s61, s61, s68                                    // 000000002E74: 923D443D
	s_mul_i32 s61, s61, s66                                    // 000000002E78: 923D423D
	s_and_b32 s85, s85, 0xffffff                               // 000000002E7C: 8655FF55 00FFFFFF
	s_mul_i32 s60, s85, s68                                    // 000000002E84: 923C4455
	s_add_u32 s60, s61, s60                                    // 000000002E88: 803C3C3D
	v_add_u32_e64 v27, v42, s60                                // 000000002E8C: D134001B 0000792A
	s_lshr_b32 s61, s86, 24                                    // 000000002E94: 8F3D9856
	s_mul_i32 s61, s61, s68                                    // 000000002E98: 923D443D
	s_mul_i32 s61, s61, s66                                    // 000000002E9C: 923D423D
	s_and_b32 s86, s86, 0xffffff                               // 000000002EA0: 8656FF56 00FFFFFF
	s_mul_i32 s60, s86, s68                                    // 000000002EA8: 923C4456
	s_add_u32 s60, s61, s60                                    // 000000002EAC: 803C3C3D
	v_add_u32_e64 v28, v42, s60                                // 000000002EB0: D134001C 0000792A
	s_lshr_b32 s61, s87, 24                                    // 000000002EB8: 8F3D9857
	s_mul_i32 s61, s61, s68                                    // 000000002EBC: 923D443D
	s_mul_i32 s61, s61, s66                                    // 000000002EC0: 923D423D
	s_and_b32 s87, s87, 0xffffff                               // 000000002EC4: 8657FF57 00FFFFFF
	s_mul_i32 s60, s87, s68                                    // 000000002ECC: 923C4457
	s_add_u32 s60, s61, s60                                    // 000000002ED0: 803C3C3D
	v_add_u32_e64 v29, v42, s60                                // 000000002ED4: D134001D 0000792A
	s_lshr_b32 s61, s88, 24                                    // 000000002EDC: 8F3D9858
	s_mul_i32 s61, s61, s68                                    // 000000002EE0: 923D443D
	s_mul_i32 s61, s61, s66                                    // 000000002EE4: 923D423D
	s_and_b32 s88, s88, 0xffffff                               // 000000002EE8: 8658FF58 00FFFFFF
	s_mul_i32 s60, s88, s68                                    // 000000002EF0: 923C4458
	s_add_u32 s60, s61, s60                                    // 000000002EF4: 803C3C3D
	v_add_u32_e64 v30, v42, s60                                // 000000002EF8: D134001E 0000792A
	s_lshr_b32 s61, s89, 24                                    // 000000002F00: 8F3D9859
	s_mul_i32 s61, s61, s68                                    // 000000002F04: 923D443D
	s_mul_i32 s61, s61, s66                                    // 000000002F08: 923D423D
	s_and_b32 s89, s89, 0xffffff                               // 000000002F0C: 8659FF59 00FFFFFF
	s_mul_i32 s60, s89, s68                                    // 000000002F14: 923C4459
	s_add_u32 s60, s61, s60                                    // 000000002F18: 803C3C3D
	v_add_u32_e64 v31, v42, s60                                // 000000002F1C: D134001F 0000792A
	v_lshlrev_b32_e32 v42, 2, v0                               // 000000002F24: 24540082
	s_mul_i32 s60, s82, s71                                    // 000000002F28: 923C4752
	v_add_u32_e64 v80, v42, s60                                // 000000002F2C: D1340050 0000792A
	v_mov_b32_e32 v81, 0                                       // 000000002F34: 7EA20280
	s_mul_i32 s60, s83, s71                                    // 000000002F38: 923C4753
	v_add_u32_e64 v82, v42, s60                                // 000000002F3C: D1340052 0000792A
	v_mov_b32_e32 v83, 0                                       // 000000002F44: 7EA60280
	s_mul_i32 s60, s84, s71                                    // 000000002F48: 923C4754
	v_add_u32_e64 v84, v42, s60                                // 000000002F4C: D1340054 0000792A
	v_mov_b32_e32 v85, 0                                       // 000000002F54: 7EAA0280
	s_mul_i32 s60, s85, s71                                    // 000000002F58: 923C4755
	v_add_u32_e64 v86, v42, s60                                // 000000002F5C: D1340056 0000792A
	v_mov_b32_e32 v87, 0                                       // 000000002F64: 7EAE0280
	s_mul_i32 s60, s86, s71                                    // 000000002F68: 923C4756
	v_add_u32_e64 v88, v42, s60                                // 000000002F6C: D1340058 0000792A
	v_mov_b32_e32 v89, 0                                       // 000000002F74: 7EB20280
	s_mul_i32 s60, s87, s71                                    // 000000002F78: 923C4757
	v_add_u32_e64 v90, v42, s60                                // 000000002F7C: D134005A 0000792A
	v_mov_b32_e32 v91, 0                                       // 000000002F84: 7EB60280
	s_mul_i32 s60, s88, s71                                    // 000000002F88: 923C4758
	v_add_u32_e64 v92, v42, s60                                // 000000002F8C: D134005C 0000792A
	v_mov_b32_e32 v93, 0                                       // 000000002F94: 7EBA0280
	s_mul_i32 s60, s89, s71                                    // 000000002F98: 923C4759
	v_add_u32_e64 v94, v42, s60                                // 000000002F9C: D134005E 0000792A
	v_mov_b32_e32 v95, 0                                       // 000000002FA4: 7EBE0280
	s_mul_i32 s60, s7, 0x820                                   // 000000002FA8: 923CFF07 00000820
	s_add_u32 s50, 0, s60                                      // 000000002FB0: 80323C80
	s_add_u32 s51, 0x2080, s50                                 // 000000002FB4: 803332FF 00002080
	v_lshrrev_b32_e32 v42, 4, v0                               // 000000002FBC: 20540084
	v_lshlrev_b32_e32 v43, 2, v42                              // 000000002FC0: 24565482
	v_and_b32_e32 v42, 15, v0                                  // 000000002FC4: 2654008F
	v_lshrrev_b32_e32 v44, 2, v42                              // 000000002FC8: 20585482
	v_lshlrev_b32_e32 v44, 6, v44                              // 000000002FCC: 24585886
	v_add_u32_e32 v43, v44, v43                                // 000000002FD0: 6856572C
	v_and_b32_e32 v42, 3, v0                                   // 000000002FD4: 26540083
	v_mul_i32_i24_e32 v44, 0x208, v42                          // 000000002FD8: 0C5854FF 00000208
	v_add_u32_e32 v43, v44, v43                                // 000000002FE0: 6856572C
	v_lshlrev_b32_e32 v2, 2, v43                               // 000000002FE4: 24045682
	s_mul_i32 s60, s2, 0x80                                    // 000000002FE8: 923CFF02 00000080
	s_mul_i32 s60, s60, s69                                    // 000000002FF0: 923C453C
	s_mul_i32 s61, s5, s72                                     // 000000002FF4: 923D4805
	s_add_u32 s60, s61, s60                                    // 000000002FF8: 803C3C3D
	s_add_u32 s24, s60, s24                                    // 000000002FFC: 8018183C
	s_addc_u32 s25, 0, s25                                     // 000000003000: 82191980
	s_mul_i32 s60, s7, 16                                      // 000000003004: 923C9007
	s_mul_i32 s60, s60, s69                                    // 000000003008: 923C453C
	v_lshlrev_b32_e32 v32, 4, v0                               // 00000000300C: 24400084
	v_add_u32_e32 v32, s60, v32                                // 000000003010: 6840403C
	s_mul_i32 s60, 64, s69                                     // 000000003014: 923C45C0
	v_add_u32_e32 v33, s60, v32                                // 000000003018: 6842403C
	s_mul_i32 s60, s2, 0x800                                   // 00000000301C: 923CFF02 00000800
	s_mul_i32 s61, s5, s73                                     // 000000003024: 923D4905
	s_add_u32 s60, s61, s60                                    // 000000003028: 803C3C3D
	s_add_u32 s12, s60, s12                                    // 00000000302C: 800C0C3C
	s_addc_u32 s13, 0, s13                                     // 000000003030: 820D0D80
	s_mul_i32 s60, s7, 16                                      // 000000003034: 923C9007
	s_mul_i32 s60, s60, s70                                    // 000000003038: 923C463C
	v_lshlrev_b32_e32 v34, 4, v0                               // 00000000303C: 24440084
	v_add_u32_e32 v34, s60, v34                                // 000000003040: 6844443C
	s_mul_i32 s60, 64, s70                                     // 000000003044: 923C46C0
	v_add_u32_e32 v35, s60, v34                                // 000000003048: 6846443C
	v_add_u32_e32 v36, s60, v35                                // 00000000304C: 6848463C
	v_add_u32_e32 v37, s60, v36                                // 000000003050: 684A483C
	s_mul_i32 s60, s3, 32                                      // 000000003054: 923CA003
	s_mul_i32 s60, 4, s60                                      // 000000003058: 923C3C84
	s_add_u32 s40, s60, s40                                    // 00000000305C: 8028283C
	s_addc_u32 s41, 0, s41                                     // 000000003060: 82292980
	v_and_b32_e32 v42, 15, v0                                  // 000000003064: 2654008F
	v_lshlrev_b32_e32 v8, 2, v42                               // 000000003068: 24105482
	v_add_u32_e32 v9, 64, v8                                   // 00000000306C: 681210C0
	v_lshrrev_b32_e32 v42, 4, v0                               // 000000003070: 20540084
	v_lshlrev_b32_e32 v43, 2, v42                              // 000000003074: 24565482
	v_and_b32_e32 v42, 15, v0                                  // 000000003078: 2654008F
	v_lshrrev_b32_e32 v44, 2, v42                              // 00000000307C: 20585482
	v_lshlrev_b32_e32 v44, 6, v44                              // 000000003080: 24585886
	v_add_u32_e32 v43, v44, v43                                // 000000003084: 6856572C
	v_and_b32_e32 v42, 3, v0                                   // 000000003088: 26540083
	v_add_u32_e32 v43, v42, v43                                // 00000000308C: 6856572A
	v_lshlrev_b32_e32 v10, 2, v43                              // 000000003090: 24145682
	v_add_u32_e32 v11, 0x400, v10                              // 000000003094: 681614FF 00000400
	s_mul_i32 s60, s7, 16                                      // 00000000309C: 923C9007
	s_mul_i32 s60, s60, 4                                      // 0000000030A0: 923C843C
	v_add_u32_e32 v10, s60, v10                                // 0000000030A4: 6814143C
	v_add_u32_e32 v11, s60, v11                                // 0000000030A8: 6816163C
	v_mov_b32_e32 v5, v10                                      // 0000000030AC: 7E0A030A
	s_mul_i32 s60, s2, 0x80                                    // 0000000030B0: 923CFF02 00000080
	s_mul_i32 s60, s60, 4                                      // 0000000030B8: 923C843C
	s_mul_i32 s61, s5, s74                                     // 0000000030BC: 923D4A05
	s_add_u32 s61, s61, s60                                    // 0000000030C0: 803D3C3D
	s_mul_i32 s62, s5, s76                                     // 0000000030C4: 923E4C05
	s_add_u32 s62, s62, s60                                    // 0000000030C8: 803E3C3E
	s_add_u32 s32, s61, s32                                    // 0000000030CC: 8020203D
	s_addc_u32 s33, 0, s33                                     // 0000000030D0: 82212180
	s_add_u32 s36, s62, s36                                    // 0000000030D4: 8024243E
	s_addc_u32 s37, 0, s37                                     // 0000000030D8: 82252580
	s_mul_i32 s60, s5, s75                                     // 0000000030DC: 923C4B05
	s_add_u32 s16, s60, s16                                    // 0000000030E0: 8010103C
	s_addc_u32 s17, 0, s17                                     // 0000000030E4: 82111180
	s_mov_b32 s57, 0x100                                       // 0000000030E8: BEB900FF 00000100
	s_mov_b32 s58, 0x1000                                      // 0000000030F0: BEBA00FF 00001000
	s_mov_b32 s79, 0x400                                       // 0000000030F8: BECF00FF 00000400
	s_mov_b32 s59, 0x200                                       // 000000003100: BEBB00FF 00000200
	s_mul_i32 s60, s70, 0x100                                  // 000000003108: 923CFF46 00000100
	s_mov_b32 s78, 0x400                                       // 000000003110: BECE00FF 00000400
	s_mul_i32 s61, s78, 1                                      // 000000003118: 923D814E
	s_sub_u32 s56, s60, s61                                    // 00000000311C: 80B83D3C
	s_mov_b32 s52, 0x7060302                                   // 000000003120: BEB400FF 07060302
	s_mov_b32 s53, 0x400                                       // 000000003128: BEB500FF 00000400
	s_mov_b32 s54, 0x40100                                     // 000000003130: BEB600FF 00040100
	s_mov_b32 s55, 0x4020100                                   // 000000003138: BEB700FF 04020100
	s_mov_b32 s6, 0x3fb8aa3b                                   // 000000003140: BE8600FF 3FB8AA3B
	s_mov_b32 s77, 0xbd92220c                                  // 000000003148: BECD00FF BD92220C
	s_mov_b32 m0, s50                                          // 000000003150: BEFC0032
	v_mov_b32_e32 v1, 0xbfcc4231                               // 000000003154: 7E0202FF BFCC4231
	v_mov_b32_e32 v39, 0xffff0000                              // 00000000315C: 7E4E02FF FFFF0000
	v_mov_b32_e32 v40, 0x7fff0000                              // 000000003164: 7E5002FF 7FFF0000
	v_mov_b32_e32 v41, 0x7fff                                  // 00000000316C: 7E5202FF 00007FFF
	s_waitcnt vmcnt(0) expcnt(0) lgkmcnt(0)                    // 000000003174: BF8C0000
	v_lshrrev_b32_e32 v42, 24, v6                              // 000000003178: 20540C98
	v_mul_i32_i24_e32 v42, s66, v42                            // 00000000317C: 0C545442
	v_and_b32_e32 v43, 0xffffff, v6                            // 000000003180: 26560CFF 00FFFFFF
	v_add_u32_e32 v6, v42, v43                                 // 000000003188: 680C572A
	v_lshrrev_b32_e32 v42, 24, v7                              // 00000000318C: 20540E98
	v_mul_i32_i24_e32 v42, s66, v42                            // 000000003190: 0C545442
	v_and_b32_e32 v43, 0xffffff, v7                            // 000000003194: 26560EFF 00FFFFFF
	v_add_u32_e32 v7, v42, v43                                 // 00000000319C: 680E572A
	v_lshlrev_b32_e32 v6, 2, v6                                // 0000000031A0: 240C0C82
	v_lshlrev_b32_e32 v7, 2, v7                                // 0000000031A4: 240E0E82
	buffer_load_dword v13, v6, s[28:31], 0 offen               // 0000000031A8: E0501000 80070D06
	buffer_load_dword v14, v7, s[28:31], 0 offen               // 0000000031B0: E0501000 80070E07
	buffer_load_dword v15, v10, s[32:35], 0 offen              // 0000000031B8: E0501000 80080F0A
	buffer_load_dword v16, v11, s[32:35], 0 offen              // 0000000031C0: E0501000 8008100B
	buffer_load_dword v16, v10, s[36:39], 0 offen              // 0000000031C8: E0501000 8009100A
	buffer_load_dword v17, v11, s[36:39], 0 offen              // 0000000031D0: E0501000 8009110B
	buffer_load_dword v17, v8, s[40:43], 0 offen               // 0000000031D8: E0501000 800A1108
	buffer_load_dword v18, v9, s[40:43], 0 offen               // 0000000031E0: E0501000 800A1209
	buffer_load_dword v24, s[20:23], 0 offen lds               // 0000000031E8: E0511000 80050018
	s_add_u32 m0, 0x100, s50                                   // 0000000031F0: 807C32FF 00000100
	buffer_load_dword v25, s[20:23], 0 offen lds               // 0000000031F8: E0511000 80050019
	s_add_u32 m0, 0x200, s50                                   // 000000003200: 807C32FF 00000200
	buffer_load_dword v26, s[20:23], 0 offen lds               // 000000003208: E0511000 8005001A
	s_add_u32 m0, 0x300, s50                                   // 000000003210: 807C32FF 00000300
	buffer_load_dword v27, s[20:23], 0 offen lds               // 000000003218: E0511000 8005001B
	s_add_u32 m0, 0x400, s50                                   // 000000003220: 807C32FF 00000400
	buffer_load_dword v28, s[20:23], 0 offen lds               // 000000003228: E0511000 8005001C
	s_add_u32 m0, 0x500, s50                                   // 000000003230: 807C32FF 00000500
	buffer_load_dword v29, s[20:23], 0 offen lds               // 000000003238: E0511000 8005001D
	s_add_u32 m0, 0x600, s50                                   // 000000003240: 807C32FF 00000600
	buffer_load_dword v30, s[20:23], 0 offen lds               // 000000003248: E0511000 8005001E
	s_add_u32 m0, 0x700, s50                                   // 000000003250: 807C32FF 00000700
	buffer_load_dword v31, s[20:23], 0 offen lds               // 000000003258: E0511000 8005001F
	s_add_u32 m0, 0, s51                                       // 000000003260: 807C3380
	s_add_u32 s20, s57, s20                                    // 000000003264: 80141439
	s_addc_u32 s21, 0, s21                                     // 000000003268: 82151580
	buffer_load_dword v24, s[20:23], 0 offen lds               // 00000000326C: E0511000 80050018
	s_add_u32 m0, 0x100, s51                                   // 000000003274: 807C33FF 00000100
	buffer_load_dword v25, s[20:23], 0 offen lds               // 00000000327C: E0511000 80050019
	s_add_u32 m0, 0x200, s51                                   // 000000003284: 807C33FF 00000200
	buffer_load_dword v26, s[20:23], 0 offen lds               // 00000000328C: E0511000 8005001A
	s_add_u32 m0, 0x300, s51                                   // 000000003294: 807C33FF 00000300
	buffer_load_dword v27, s[20:23], 0 offen lds               // 00000000329C: E0511000 8005001B
	s_add_u32 m0, 0x400, s51                                   // 0000000032A4: 807C33FF 00000400
	buffer_load_dword v28, s[20:23], 0 offen lds               // 0000000032AC: E0511000 8005001C
	s_add_u32 m0, 0x500, s51                                   // 0000000032B4: 807C33FF 00000500
	buffer_load_dword v29, s[20:23], 0 offen lds               // 0000000032BC: E0511000 8005001D
	s_add_u32 m0, 0x600, s51                                   // 0000000032C4: 807C33FF 00000600
	buffer_load_dword v30, s[20:23], 0 offen lds               // 0000000032CC: E0511000 8005001E
	s_add_u32 m0, 0x700, s51                                   // 0000000032D4: 807C33FF 00000700
	buffer_load_dword v31, s[20:23], 0 offen lds               // 0000000032DC: E0511000 8005001F
	s_add_u32 m0, 0, s50                                       // 0000000032E4: 807C3280
	s_add_u32 s20, s57, s20                                    // 0000000032E8: 80141439
	s_addc_u32 s21, 0, s21                                     // 0000000032EC: 82151580
	buffer_load_dwordx4 a[0:3], v32, s[24:27], 0 offen         // 0000000032F0: E05C1000 80860020
	buffer_load_dwordx4 a[4:7], v32, s[24:27], 0 offen offset:1024// 0000000032F8: E05C1400 80860420
	buffer_load_dwordx4 a[8:11], v32, s[24:27], 0 offen offset:2048// 000000003300: E05C1800 80860820
	buffer_load_dwordx4 a[12:15], v32, s[24:27], 0 offen offset:3072// 000000003308: E05C1C00 80860C20
	buffer_load_dwordx4 a[16:19], v33, s[24:27], 0 offen       // 000000003310: E05C1000 80861021
	buffer_load_dwordx4 a[20:23], v33, s[24:27], 0 offen offset:1024// 000000003318: E05C1400 80861421
	buffer_load_dwordx4 a[24:27], v33, s[24:27], 0 offen offset:2048// 000000003320: E05C1800 80861821
	buffer_load_dwordx4 a[28:31], v33, s[24:27], 0 offen offset:3072// 000000003328: E05C1C00 80861C21
	s_add_u32 s24, s58, s24                                    // 000000003330: 8018183A
	s_addc_u32 s25, 0, s25                                     // 000000003334: 82191980
	v_mov_b32_e32 v128, 0                                      // 000000003338: 7F000280
	v_mov_b32_e32 v129, 0                                      // 00000000333C: 7F020280
	v_mov_b32_e32 v130, 0                                      // 000000003340: 7F040280
	v_mov_b32_e32 v131, 0                                      // 000000003344: 7F060280
	v_mov_b32_e32 v132, 0                                      // 000000003348: 7F080280
	v_mov_b32_e32 v133, 0                                      // 00000000334C: 7F0A0280
	v_mov_b32_e32 v134, 0                                      // 000000003350: 7F0C0280
	v_mov_b32_e32 v135, 0                                      // 000000003354: 7F0E0280
	v_mov_b32_e32 v136, 0                                      // 000000003358: 7F100280
	v_mov_b32_e32 v137, 0                                      // 00000000335C: 7F120280
	v_mov_b32_e32 v138, 0                                      // 000000003360: 7F140280
	v_mov_b32_e32 v139, 0                                      // 000000003364: 7F160280
	v_mov_b32_e32 v140, 0                                      // 000000003368: 7F180280
	v_mov_b32_e32 v141, 0                                      // 00000000336C: 7F1A0280
	v_mov_b32_e32 v142, 0                                      // 000000003370: 7F1C0280
	v_mov_b32_e32 v143, 0                                      // 000000003374: 7F1E0280
	v_lshrrev_b32_e32 v42, 4, v0                               // 000000003378: 20540084
	v_mul_i32_i24_e32 v3, 34, v42                              // 00000000337C: 0C0654A2
	v_and_b32_e32 v42, 15, v0                                  // 000000003380: 2654008F
	v_mul_i32_i24_e32 v43, 2, v42                              // 000000003384: 0C565482
	v_add_u32_e32 v3, v43, v3                                  // 000000003388: 6806072B
	s_mul_i32 s60, s7, 0x88                                    // 00000000338C: 923CFF07 00000088
	v_add_u32_e32 v3, s60, v3                                  // 000000003394: 6806063C
	v_lshlrev_b32_e32 v3, 2, v3                                // 000000003398: 24060682
	v_lshrrev_b32_e32 v42, 1, v0                               // 00000000339C: 20540081
	v_mul_i32_i24_e32 v4, 34, v42                              // 0000000033A0: 0C0854A2
	v_and_b32_e32 v43, 1, v0                                   // 0000000033A4: 26560081
	v_add_u32_e32 v4, v43, v4                                  // 0000000033A8: 6808092B
	s_mul_i32 s60, s7, 2                                       // 0000000033AC: 923C8207
	v_add_u32_e32 v4, s60, v4                                  // 0000000033B0: 6808083C
	v_lshlrev_b32_e32 v4, 2, v4                                // 0000000033B4: 24080882
	s_waitcnt vmcnt(16)                                        // 0000000033B8: BF8C4F70
	s_barrier                                                  // 0000000033BC: BF8A0000
	ds_read_b128 v[144:147], v2                                // 0000000033C0: D9FE0000 90000002
	ds_read_b128 v[148:151], v2 offset:64                      // 0000000033C8: D9FE0040 94000002
	ds_read_b128 v[152:155], v2 offset:128                     // 0000000033D0: D9FE0080 98000002
	ds_read_b128 v[156:159], v2 offset:192                     // 0000000033D8: D9FE00C0 9C000002
	ds_read_b128 v[160:163], v2 offset:1024                    // 0000000033E0: D9FE0400 A0000002
	ds_read_b128 v[164:167], v2 offset:1088                    // 0000000033E8: D9FE0440 A4000002
	ds_read_b128 v[168:171], v2 offset:1152                    // 0000000033F0: D9FE0480 A8000002
	ds_read_b128 v[172:175], v2 offset:1216                    // 0000000033F8: D9FE04C0 AC000002
	s_cmp_lt_i32 s7, 2                                         // 000000003400: BF048207
	s_cbranch_scc0 label_0A24                                  // 000000003404: BF8407E2

0000000000003408 <label_0242>:
	s_waitcnt vmcnt(0) lgkmcnt(0)                              // 000000003408: BF8C0070
	s_barrier                                                  // 00000000340C: BF8A0000
	v_mfma_i32_16x16x32_i8 v[128:131], a[0:1], v[144:145], v[128:131]// 000000003410: D3D70080 0E032100
	v_mfma_i32_16x16x32_i8 v[128:131], a[2:3], v[146:147], v[128:131]// 000000003418: D3D70080 0E032502
	buffer_load_dwordx4 a[32:35], v32, s[24:27], 0 offen       // 000000003420: E05C1000 80862020
	v_mfma_i32_16x16x32_i8 v[128:131], a[4:5], v[148:149], v[128:131]// 000000003428: D3D70080 0E032904
	v_mfma_i32_16x16x32_i8 v[128:131], a[6:7], v[150:151], v[128:131]// 000000003430: D3D70080 0E032D06
	buffer_load_dword v24, s[20:23], 0 offen lds               // 000000003438: E0511000 80050018
	s_add_u32 m0, 0x100, s50                                   // 000000003440: 807C32FF 00000100
	ds_read_b128 v[176:179], v2 offset:8320                    // 000000003448: D9FE2080 B0000002
	v_mfma_i32_16x16x32_i8 v[128:131], a[8:9], v[152:153], v[128:131]// 000000003450: D3D70080 0E033108
	v_mfma_i32_16x16x32_i8 v[128:131], a[10:11], v[154:155], v[128:131]// 000000003458: D3D70080 0E03350A
	buffer_load_dwordx4 a[36:39], v32, s[24:27], 0 offen offset:1024// 000000003460: E05C1400 80862420
	v_mfma_i32_16x16x32_i8 v[128:131], a[12:13], v[156:157], v[128:131]// 000000003468: D3D70080 0E03390C
	v_mfma_i32_16x16x32_i8 v[128:131], a[14:15], v[158:159], v[128:131]// 000000003470: D3D70080 0E033D0E
	buffer_load_dword v25, s[20:23], 0 offen lds               // 000000003478: E0511000 80050019
	s_add_u32 m0, 0x200, s50                                   // 000000003480: 807C32FF 00000200
	ds_read_b128 v[180:183], v2 offset:8384                    // 000000003488: D9FE20C0 B4000002
	v_mfma_i32_16x16x32_i8 v[132:135], a[0:1], v[160:161], v[132:135]// 000000003490: D3D70084 0E134100
	v_mfma_i32_16x16x32_i8 v[132:135], a[2:3], v[162:163], v[132:135]// 000000003498: D3D70084 0E134502
	buffer_load_dwordx4 a[40:43], v32, s[24:27], 0 offen offset:2048// 0000000034A0: E05C1800 80862820
	v_mfma_i32_16x16x32_i8 v[132:135], a[4:5], v[164:165], v[132:135]// 0000000034A8: D3D70084 0E134904
	v_mfma_i32_16x16x32_i8 v[132:135], a[6:7], v[166:167], v[132:135]// 0000000034B0: D3D70084 0E134D06
	buffer_load_dword v26, s[20:23], 0 offen lds               // 0000000034B8: E0511000 8005001A
	s_add_u32 m0, 0x300, s50                                   // 0000000034C0: 807C32FF 00000300
	ds_read_b128 v[184:187], v2 offset:8448                    // 0000000034C8: D9FE2100 B8000002
	v_mfma_i32_16x16x32_i8 v[132:135], a[8:9], v[168:169], v[132:135]// 0000000034D0: D3D70084 0E135108
	v_mfma_i32_16x16x32_i8 v[132:135], a[10:11], v[170:171], v[132:135]// 0000000034D8: D3D70084 0E13550A
	buffer_load_dwordx4 a[44:47], v32, s[24:27], 0 offen offset:3072// 0000000034E0: E05C1C00 80862C20
	v_mfma_i32_16x16x32_i8 v[132:135], a[12:13], v[172:173], v[132:135]// 0000000034E8: D3D70084 0E13590C
	v_mfma_i32_16x16x32_i8 v[132:135], a[14:15], v[174:175], v[132:135]// 0000000034F0: D3D70084 0E135D0E
	buffer_load_dword v27, s[20:23], 0 offen lds               // 0000000034F8: E0511000 8005001B
	s_add_u32 m0, 0x400, s50                                   // 000000003500: 807C32FF 00000400
	ds_read_b128 v[188:191], v2 offset:8512                    // 000000003508: D9FE2140 BC000002
	v_mfma_i32_16x16x32_i8 v[136:139], a[16:17], v[144:145], v[136:139]// 000000003510: D3D70088 0E232110
	v_mfma_i32_16x16x32_i8 v[136:139], a[18:19], v[146:147], v[136:139]// 000000003518: D3D70088 0E232512
	buffer_load_dwordx4 a[48:51], v33, s[24:27], 0 offen       // 000000003520: E05C1000 80863021
	v_mfma_i32_16x16x32_i8 v[136:139], a[20:21], v[148:149], v[136:139]// 000000003528: D3D70088 0E232914
	v_mfma_i32_16x16x32_i8 v[136:139], a[22:23], v[150:151], v[136:139]// 000000003530: D3D70088 0E232D16
	buffer_load_dword v28, s[20:23], 0 offen lds               // 000000003538: E0511000 8005001C
	s_add_u32 m0, 0x500, s50                                   // 000000003540: 807C32FF 00000500
	ds_read_b128 v[192:195], v2 offset:9344                    // 000000003548: D9FE2480 C0000002
	v_mfma_i32_16x16x32_i8 v[136:139], a[24:25], v[152:153], v[136:139]// 000000003550: D3D70088 0E233118
	v_mfma_i32_16x16x32_i8 v[136:139], a[26:27], v[154:155], v[136:139]// 000000003558: D3D70088 0E23351A
	buffer_load_dwordx4 a[52:55], v33, s[24:27], 0 offen offset:1024// 000000003560: E05C1400 80863421
	v_mfma_i32_16x16x32_i8 v[136:139], a[28:29], v[156:157], v[136:139]// 000000003568: D3D70088 0E23391C
	v_mfma_i32_16x16x32_i8 v[136:139], a[30:31], v[158:159], v[136:139]// 000000003570: D3D70088 0E233D1E
	buffer_load_dword v29, s[20:23], 0 offen lds               // 000000003578: E0511000 8005001D
	s_add_u32 m0, 0x600, s50                                   // 000000003580: 807C32FF 00000600
	ds_read_b128 v[196:199], v2 offset:9408                    // 000000003588: D9FE24C0 C4000002
	v_mfma_i32_16x16x32_i8 v[140:143], a[16:17], v[160:161], v[140:143]// 000000003590: D3D7008C 0E334110
	v_mfma_i32_16x16x32_i8 v[140:143], a[18:19], v[162:163], v[140:143]// 000000003598: D3D7008C 0E334512
	buffer_load_dwordx4 a[56:59], v33, s[24:27], 0 offen offset:2048// 0000000035A0: E05C1800 80863821
	v_mfma_i32_16x16x32_i8 v[140:143], a[20:21], v[164:165], v[140:143]// 0000000035A8: D3D7008C 0E334914
	v_mfma_i32_16x16x32_i8 v[140:143], a[22:23], v[166:167], v[140:143]// 0000000035B0: D3D7008C 0E334D16
	buffer_load_dword v30, s[20:23], 0 offen lds               // 0000000035B8: E0511000 8005001E
	s_add_u32 m0, 0x700, s50                                   // 0000000035C0: 807C32FF 00000700
	ds_read_b128 v[200:203], v2 offset:9472                    // 0000000035C8: D9FE2500 C8000002
	v_mfma_i32_16x16x32_i8 v[140:143], a[24:25], v[168:169], v[140:143]// 0000000035D0: D3D7008C 0E335118
	v_mfma_i32_16x16x32_i8 v[140:143], a[26:27], v[170:171], v[140:143]// 0000000035D8: D3D7008C 0E33551A
	buffer_load_dwordx4 a[60:63], v33, s[24:27], 0 offen offset:3072// 0000000035E0: E05C1C00 80863C21
	v_mfma_i32_16x16x32_i8 v[140:143], a[28:29], v[172:173], v[140:143]// 0000000035E8: D3D7008C 0E33591C
	v_mfma_i32_16x16x32_i8 v[140:143], a[30:31], v[174:175], v[140:143]// 0000000035F0: D3D7008C 0E335D1E
	buffer_load_dword v31, s[20:23], 0 offen lds               // 0000000035F8: E0511000 8005001F
	s_add_u32 m0, 0, s51                                       // 000000003600: 807C3380
	ds_read_b128 v[204:207], v2 offset:9536                    // 000000003604: D9FE2540 CC000002
	s_add_u32 s60, 0x300, s80                                  // 00000000360C: 803C50FF 00000300
	s_cmp_lt_u32 s60, s81                                      // 000000003614: BF0A513C
	s_cselect_b32 s57, s57, 0                                  // 000000003618: 85398039
	s_add_u32 s60, 0x200, s80                                  // 00000000361C: 803C50FF 00000200
	s_cmp_lt_u32 s60, s81                                      // 000000003624: BF0A513C
	s_cselect_b32 s58, s58, 0                                  // 000000003628: 853A803A
	s_add_u32 s20, s57, s20                                    // 00000000362C: 80141439
	s_addc_u32 s21, 0, s21                                     // 000000003630: 82151580
	s_add_u32 s24, s58, s24                                    // 000000003634: 8018183A
	s_addc_u32 s25, 0, s25                                     // 000000003638: 82191980
	s_addk_i32 s80, 0x100                                      // 00000000363C: B7500100
	s_cmp_lt_i32 s80, s81                                      // 000000003640: BF045150
	s_cbranch_scc0 label_0363                                  // 000000003644: BF840091
	s_waitcnt vmcnt(0) lgkmcnt(0)                              // 000000003648: BF8C0070
	s_barrier                                                  // 00000000364C: BF8A0000
	v_mfma_i32_16x16x32_i8 v[128:131], a[32:33], v[176:177], v[128:131]// 000000003650: D3D70080 0E036120
	v_mfma_i32_16x16x32_i8 v[128:131], a[34:35], v[178:179], v[128:131]// 000000003658: D3D70080 0E036522
	buffer_load_dwordx4 a[0:3], v32, s[24:27], 0 offen         // 000000003660: E05C1000 80860020
	v_mfma_i32_16x16x32_i8 v[128:131], a[36:37], v[180:181], v[128:131]// 000000003668: D3D70080 0E036924
	v_mfma_i32_16x16x32_i8 v[128:131], a[38:39], v[182:183], v[128:131]// 000000003670: D3D70080 0E036D26
	buffer_load_dword v24, s[20:23], 0 offen lds               // 000000003678: E0511000 80050018
	s_add_u32 m0, 0x100, s51                                   // 000000003680: 807C33FF 00000100
	ds_read_b128 v[144:147], v2                                // 000000003688: D9FE0000 90000002
	v_mfma_i32_16x16x32_i8 v[128:131], a[40:41], v[184:185], v[128:131]// 000000003690: D3D70080 0E037128
	v_mfma_i32_16x16x32_i8 v[128:131], a[42:43], v[186:187], v[128:131]// 000000003698: D3D70080 0E03752A
	buffer_load_dwordx4 a[4:7], v32, s[24:27], 0 offen offset:1024// 0000000036A0: E05C1400 80860420
	v_mfma_i32_16x16x32_i8 v[128:131], a[44:45], v[188:189], v[128:131]// 0000000036A8: D3D70080 0E03792C
	v_mfma_i32_16x16x32_i8 v[128:131], a[46:47], v[190:191], v[128:131]// 0000000036B0: D3D70080 0E037D2E
	buffer_load_dword v25, s[20:23], 0 offen lds               // 0000000036B8: E0511000 80050019
	s_add_u32 m0, 0x200, s51                                   // 0000000036C0: 807C33FF 00000200
	ds_read_b128 v[148:151], v2 offset:64                      // 0000000036C8: D9FE0040 94000002
	v_mfma_i32_16x16x32_i8 v[132:135], a[32:33], v[192:193], v[132:135]// 0000000036D0: D3D70084 0E138120
	v_mfma_i32_16x16x32_i8 v[132:135], a[34:35], v[194:195], v[132:135]// 0000000036D8: D3D70084 0E138522
	buffer_load_dwordx4 a[8:11], v32, s[24:27], 0 offen offset:2048// 0000000036E0: E05C1800 80860820
	v_mfma_i32_16x16x32_i8 v[132:135], a[36:37], v[196:197], v[132:135]// 0000000036E8: D3D70084 0E138924
	v_mfma_i32_16x16x32_i8 v[132:135], a[38:39], v[198:199], v[132:135]// 0000000036F0: D3D70084 0E138D26
	buffer_load_dword v26, s[20:23], 0 offen lds               // 0000000036F8: E0511000 8005001A
	s_add_u32 m0, 0x300, s51                                   // 000000003700: 807C33FF 00000300
	ds_read_b128 v[152:155], v2 offset:128                     // 000000003708: D9FE0080 98000002
	v_mfma_i32_16x16x32_i8 v[132:135], a[40:41], v[200:201], v[132:135]// 000000003710: D3D70084 0E139128
	v_mfma_i32_16x16x32_i8 v[132:135], a[42:43], v[202:203], v[132:135]// 000000003718: D3D70084 0E13952A
	buffer_load_dwordx4 a[12:15], v32, s[24:27], 0 offen offset:3072// 000000003720: E05C1C00 80860C20
	v_mfma_i32_16x16x32_i8 v[132:135], a[44:45], v[204:205], v[132:135]// 000000003728: D3D70084 0E13992C
	v_mfma_i32_16x16x32_i8 v[132:135], a[46:47], v[206:207], v[132:135]// 000000003730: D3D70084 0E139D2E
	buffer_load_dword v27, s[20:23], 0 offen lds               // 000000003738: E0511000 8005001B
	s_add_u32 m0, 0x400, s51                                   // 000000003740: 807C33FF 00000400
	ds_read_b128 v[156:159], v2 offset:192                     // 000000003748: D9FE00C0 9C000002
	v_mfma_i32_16x16x32_i8 v[136:139], a[48:49], v[176:177], v[136:139]// 000000003750: D3D70088 0E236130
	v_mfma_i32_16x16x32_i8 v[136:139], a[50:51], v[178:179], v[136:139]// 000000003758: D3D70088 0E236532
	buffer_load_dwordx4 a[16:19], v33, s[24:27], 0 offen       // 000000003760: E05C1000 80861021
	v_mfma_i32_16x16x32_i8 v[136:139], a[52:53], v[180:181], v[136:139]// 000000003768: D3D70088 0E236934
	v_mfma_i32_16x16x32_i8 v[136:139], a[54:55], v[182:183], v[136:139]// 000000003770: D3D70088 0E236D36
	buffer_load_dword v28, s[20:23], 0 offen lds               // 000000003778: E0511000 8005001C
	s_add_u32 m0, 0x500, s51                                   // 000000003780: 807C33FF 00000500
	ds_read_b128 v[160:163], v2 offset:1024                    // 000000003788: D9FE0400 A0000002
	v_mfma_i32_16x16x32_i8 v[136:139], a[56:57], v[184:185], v[136:139]// 000000003790: D3D70088 0E237138
	v_mfma_i32_16x16x32_i8 v[136:139], a[58:59], v[186:187], v[136:139]// 000000003798: D3D70088 0E23753A
	buffer_load_dwordx4 a[20:23], v33, s[24:27], 0 offen offset:1024// 0000000037A0: E05C1400 80861421
	v_mfma_i32_16x16x32_i8 v[136:139], a[60:61], v[188:189], v[136:139]// 0000000037A8: D3D70088 0E23793C
	v_mfma_i32_16x16x32_i8 v[136:139], a[62:63], v[190:191], v[136:139]// 0000000037B0: D3D70088 0E237D3E
	buffer_load_dword v29, s[20:23], 0 offen lds               // 0000000037B8: E0511000 8005001D
	s_add_u32 m0, 0x600, s51                                   // 0000000037C0: 807C33FF 00000600
	ds_read_b128 v[164:167], v2 offset:1088                    // 0000000037C8: D9FE0440 A4000002
	v_mfma_i32_16x16x32_i8 v[140:143], a[48:49], v[192:193], v[140:143]// 0000000037D0: D3D7008C 0E338130
	v_mfma_i32_16x16x32_i8 v[140:143], a[50:51], v[194:195], v[140:143]// 0000000037D8: D3D7008C 0E338532
	buffer_load_dwordx4 a[24:27], v33, s[24:27], 0 offen offset:2048// 0000000037E0: E05C1800 80861821
	v_mfma_i32_16x16x32_i8 v[140:143], a[52:53], v[196:197], v[140:143]// 0000000037E8: D3D7008C 0E338934
	v_mfma_i32_16x16x32_i8 v[140:143], a[54:55], v[198:199], v[140:143]// 0000000037F0: D3D7008C 0E338D36
	buffer_load_dword v30, s[20:23], 0 offen lds               // 0000000037F8: E0511000 8005001E
	s_add_u32 m0, 0x700, s51                                   // 000000003800: 807C33FF 00000700
	ds_read_b128 v[168:171], v2 offset:1152                    // 000000003808: D9FE0480 A8000002
	v_mfma_i32_16x16x32_i8 v[140:143], a[56:57], v[200:201], v[140:143]// 000000003810: D3D7008C 0E339138
	v_mfma_i32_16x16x32_i8 v[140:143], a[58:59], v[202:203], v[140:143]// 000000003818: D3D7008C 0E33953A
	buffer_load_dwordx4 a[28:31], v33, s[24:27], 0 offen offset:3072// 000000003820: E05C1C00 80861C21
	v_mfma_i32_16x16x32_i8 v[140:143], a[60:61], v[204:205], v[140:143]// 000000003828: D3D7008C 0E33993C
	v_mfma_i32_16x16x32_i8 v[140:143], a[62:63], v[206:207], v[140:143]// 000000003830: D3D7008C 0E339D3E
	buffer_load_dword v31, s[20:23], 0 offen lds               // 000000003838: E0511000 8005001F
	s_add_u32 m0, 0, s50                                       // 000000003840: 807C3280
	ds_read_b128 v[172:175], v2 offset:1216                    // 000000003844: D9FE04C0 AC000002
	s_add_u32 s60, 0x300, s80                                  // 00000000384C: 803C50FF 00000300
	s_cmp_lt_u32 s60, s81                                      // 000000003854: BF0A513C
	s_cselect_b32 s57, s57, 0                                  // 000000003858: 85398039
	s_add_u32 s60, 0x200, s80                                  // 00000000385C: 803C50FF 00000200
	s_cmp_lt_u32 s60, s81                                      // 000000003864: BF0A513C
	s_cselect_b32 s58, s58, 0                                  // 000000003868: 853A803A
	s_add_u32 s20, s57, s20                                    // 00000000386C: 80141439
	s_addc_u32 s21, 0, s21                                     // 000000003870: 82151580
	s_add_u32 s24, s58, s24                                    // 000000003874: 8018183A
	s_addc_u32 s25, 0, s25                                     // 000000003878: 82191980
	s_addk_i32 s80, 0x100                                      // 00000000387C: B7500100
	s_cmp_lt_i32 s80, s81                                      // 000000003880: BF045150
	s_cbranch_scc0 label_0363                                  // 000000003884: BF840001
	s_branch label_0242                                        // 000000003888: BF82FEDF

000000000000388c <label_0363>:
	s_mov_b32 s36, -1                                          // 00000000388C: BEA400C1
	s_mov_b32 s37, -1                                          // 000000003890: BEA500C1
	s_mov_b64 s[60:61], 0                                      // 000000003894: BEBC0180
	s_cmp_lt_u32 s82, s66                                      // 000000003898: BF0A4252
	s_cselect_b64 s[20:21], s[36:37], s[60:61]                 // 00000000389C: 85943C24
	s_cmp_lt_u32 s83, s66                                      // 0000000038A0: BF0A4253
	s_cselect_b64 s[22:23], s[36:37], s[60:61]                 // 0000000038A4: 85963C24
	s_cmp_lt_u32 s84, s66                                      // 0000000038A8: BF0A4254
	s_cselect_b64 s[24:25], s[36:37], s[60:61]                 // 0000000038AC: 85983C24
	s_cmp_lt_u32 s85, s66                                      // 0000000038B0: BF0A4255
	s_cselect_b64 s[26:27], s[36:37], s[60:61]                 // 0000000038B4: 859A3C24
	s_cmp_lt_u32 s86, s66                                      // 0000000038B8: BF0A4256
	s_cselect_b64 s[28:29], s[36:37], s[60:61]                 // 0000000038BC: 859C3C24
	s_cmp_lt_u32 s87, s66                                      // 0000000038C0: BF0A4257
	s_cselect_b64 s[30:31], s[36:37], s[60:61]                 // 0000000038C4: 859E3C24
	s_cmp_lt_u32 s88, s66                                      // 0000000038C8: BF0A4258
	s_cselect_b64 s[32:33], s[36:37], s[60:61]                 // 0000000038CC: 85A03C24
	s_cmp_lt_u32 s89, s66                                      // 0000000038D0: BF0A4259
	s_cselect_b64 s[34:35], s[36:37], s[60:61]                 // 0000000038D4: 85A23C24
	v_cvt_f32_i32_e32 v128, v128                               // 0000000038D8: 7F000B80
	v_cvt_f32_i32_e32 v129, v129                               // 0000000038DC: 7F020B81
	v_cvt_f32_i32_e32 v130, v130                               // 0000000038E0: 7F040B82
	v_cvt_f32_i32_e32 v131, v131                               // 0000000038E4: 7F060B83
	v_mul_f32_e32 v128, v13, v128                              // 0000000038E8: 0B01010D
	v_mul_f32_e32 v129, v13, v129                              // 0000000038EC: 0B03030D
	v_mul_f32_e32 v130, v13, v130                              // 0000000038F0: 0B05050D
	v_mul_f32_e32 v131, v13, v131                              // 0000000038F4: 0B07070D
	v_mul_f32_dpp v128, v15, v128 row_newbcast:0 row_mask:0xf bank_mask:0xf// 0000000038F8: 0B0100FA FF01500F
	v_mul_f32_dpp v129, v15, v129 row_newbcast:1 row_mask:0xf bank_mask:0xf// 000000003900: 0B0302FA FF01510F
	v_mul_f32_dpp v130, v15, v130 row_newbcast:2 row_mask:0xf bank_mask:0xf// 000000003908: 0B0504FA FF01520F
	v_mul_f32_dpp v131, v15, v131 row_newbcast:3 row_mask:0xf bank_mask:0xf// 000000003910: 0B0706FA FF01530F
	v_cvt_f32_i32_e32 v132, v132                               // 000000003918: 7F080B84
	v_cvt_f32_i32_e32 v133, v133                               // 00000000391C: 7F0A0B85
	v_cvt_f32_i32_e32 v134, v134                               // 000000003920: 7F0C0B86
	v_cvt_f32_i32_e32 v135, v135                               // 000000003924: 7F0E0B87
	v_mul_f32_e32 v132, v14, v132                              // 000000003928: 0B09090E
	v_mul_f32_e32 v133, v14, v133                              // 00000000392C: 0B0B0B0E
	v_mul_f32_e32 v134, v14, v134                              // 000000003930: 0B0D0D0E
	v_mul_f32_e32 v135, v14, v135                              // 000000003934: 0B0F0F0E
	v_mul_f32_dpp v132, v15, v132 row_newbcast:0 row_mask:0xf bank_mask:0xf// 000000003938: 0B0908FA FF01500F
	v_mul_f32_dpp v133, v15, v133 row_newbcast:1 row_mask:0xf bank_mask:0xf// 000000003940: 0B0B0AFA FF01510F
	v_mul_f32_dpp v134, v15, v134 row_newbcast:2 row_mask:0xf bank_mask:0xf// 000000003948: 0B0D0CFA FF01520F
	v_mul_f32_dpp v135, v15, v135 row_newbcast:3 row_mask:0xf bank_mask:0xf// 000000003950: 0B0F0EFA FF01530F
	v_cvt_f32_i32_e32 v136, v136                               // 000000003958: 7F100B88
	v_cvt_f32_i32_e32 v137, v137                               // 00000000395C: 7F120B89
	v_cvt_f32_i32_e32 v138, v138                               // 000000003960: 7F140B8A
	v_cvt_f32_i32_e32 v139, v139                               // 000000003964: 7F160B8B
	v_mul_f32_e32 v136, v13, v136                              // 000000003968: 0B11110D
	v_mul_f32_e32 v137, v13, v137                              // 00000000396C: 0B13130D
	v_mul_f32_e32 v138, v13, v138                              // 000000003970: 0B15150D
	v_mul_f32_e32 v139, v13, v139                              // 000000003974: 0B17170D
	v_mul_f32_dpp v136, v15, v136 row_newbcast:4 row_mask:0xf bank_mask:0xf// 000000003978: 0B1110FA FF01540F
	v_mul_f32_dpp v137, v15, v137 row_newbcast:5 row_mask:0xf bank_mask:0xf// 000000003980: 0B1312FA FF01550F
	v_mul_f32_dpp v138, v15, v138 row_newbcast:6 row_mask:0xf bank_mask:0xf// 000000003988: 0B1514FA FF01560F
	v_mul_f32_dpp v139, v15, v139 row_newbcast:7 row_mask:0xf bank_mask:0xf// 000000003990: 0B1716FA FF01570F
	v_cvt_f32_i32_e32 v140, v140                               // 000000003998: 7F180B8C
	v_cvt_f32_i32_e32 v141, v141                               // 00000000399C: 7F1A0B8D
	v_cvt_f32_i32_e32 v142, v142                               // 0000000039A0: 7F1C0B8E
	v_cvt_f32_i32_e32 v143, v143                               // 0000000039A4: 7F1E0B8F
	v_mul_f32_e32 v140, v14, v140                              // 0000000039A8: 0B19190E
	v_mul_f32_e32 v141, v14, v141                              // 0000000039AC: 0B1B1B0E
	v_mul_f32_e32 v142, v14, v142                              // 0000000039B0: 0B1D1D0E
	v_mul_f32_e32 v143, v14, v143                              // 0000000039B4: 0B1F1F0E
	v_mul_f32_dpp v140, v15, v140 row_newbcast:4 row_mask:0xf bank_mask:0xf// 0000000039B8: 0B1918FA FF01540F
	v_mul_f32_dpp v141, v15, v141 row_newbcast:5 row_mask:0xf bank_mask:0xf// 0000000039C0: 0B1B1AFA FF01550F
	v_mul_f32_dpp v142, v15, v142 row_newbcast:6 row_mask:0xf bank_mask:0xf// 0000000039C8: 0B1D1CFA FF01560F
	v_mul_f32_dpp v143, v15, v143 row_newbcast:7 row_mask:0xf bank_mask:0xf// 0000000039D0: 0B1F1EFA FF01570F
	s_waitcnt vmcnt(4)                                         // 0000000039D8: BF8C0F74
	buffer_load_dwordx4 a[0:3], v34, s[12:15], 0 offen         // 0000000039DC: E05C1000 80830022
	v_mul_f32_e32 v42, v128, v128                              // 0000000039E4: 0A550180
	v_mul_f32_e32 v43, v129, v129                              // 0000000039E8: 0A570381
	v_mul_f32_e32 v44, v130, v130                              // 0000000039EC: 0A590582
	v_mul_f32_e32 v45, v131, v131                              // 0000000039F0: 0A5B0783
	v_fma_f32 v42, v42, s77, v1                                // 0000000039F4: D1CB002A 04049B2A
	v_fma_f32 v43, v43, s77, v1                                // 0000000039FC: D1CB002B 04049B2B
	v_fma_f32 v44, v44, s77, v1                                // 000000003A04: D1CB002C 04049B2C
	v_fma_f32 v45, v45, s77, v1                                // 000000003A0C: D1CB002D 04049B2D
	v_mul_f32_e32 v42, v42, v128                               // 000000003A14: 0A55012A
	v_mul_f32_e32 v43, v43, v129                               // 000000003A18: 0A57032B
	v_mul_f32_e32 v44, v44, v130                               // 000000003A1C: 0A59052C
	v_mul_f32_e32 v45, v45, v131                               // 000000003A20: 0A5B072D
	v_mul_f32_e64 v42, v42, s6                                 // 000000003A24: D105002A 00000D2A
	v_mul_f32_e64 v43, v43, s6                                 // 000000003A2C: D105002B 00000D2B
	v_mul_f32_e64 v44, v44, s6                                 // 000000003A34: D105002C 00000D2C
	v_mul_f32_e64 v45, v45, s6                                 // 000000003A3C: D105002D 00000D2D
	v_exp_f32_e32 v42, v42                                     // 000000003A44: 7E54412A
	v_exp_f32_e32 v43, v43                                     // 000000003A48: 7E56412B
	v_exp_f32_e32 v44, v44                                     // 000000003A4C: 7E58412C
	v_exp_f32_e32 v45, v45                                     // 000000003A50: 7E5A412D
	buffer_load_dwordx4 a[4:7], v35, s[12:15], 0 offen         // 000000003A54: E05C1000 80830423
	v_add_f32_e64 v42, v42, 1.0                                // 000000003A5C: D101002A 0001E52A
	v_add_f32_e64 v43, v43, 1.0                                // 000000003A64: D101002B 0001E52B
	v_add_f32_e64 v44, v44, 1.0                                // 000000003A6C: D101002C 0001E52C
	v_add_f32_e64 v45, v45, 1.0                                // 000000003A74: D101002D 0001E52D
	v_rcp_f32_e32 v42, v42                                     // 000000003A7C: 7E54452A
	v_rcp_f32_e32 v43, v43                                     // 000000003A80: 7E56452B
	v_rcp_f32_e32 v44, v44                                     // 000000003A84: 7E58452C
	v_rcp_f32_e32 v45, v45                                     // 000000003A88: 7E5A452D
	v_mul_f32_e32 v128, v128, v42                              // 000000003A8C: 0B005580
	v_mul_f32_e32 v129, v129, v43                              // 000000003A90: 0B025781
	v_mul_f32_e32 v130, v130, v44                              // 000000003A94: 0B045982
	v_mul_f32_e32 v131, v131, v45                              // 000000003A98: 0B065B83
	buffer_load_dwordx4 a[8:11], v36, s[12:15], 0 offen        // 000000003A9C: E05C1000 80830824
	v_mul_f32_e32 v42, v132, v132                              // 000000003AA4: 0A550984
	v_mul_f32_e32 v43, v133, v133                              // 000000003AA8: 0A570B85
	v_mul_f32_e32 v44, v134, v134                              // 000000003AAC: 0A590D86
	v_mul_f32_e32 v45, v135, v135                              // 000000003AB0: 0A5B0F87
	v_fma_f32 v42, v42, s77, v1                                // 000000003AB4: D1CB002A 04049B2A
	v_fma_f32 v43, v43, s77, v1                                // 000000003ABC: D1CB002B 04049B2B
	v_fma_f32 v44, v44, s77, v1                                // 000000003AC4: D1CB002C 04049B2C
	v_fma_f32 v45, v45, s77, v1                                // 000000003ACC: D1CB002D 04049B2D
	v_mul_f32_e32 v42, v42, v132                               // 000000003AD4: 0A55092A
	v_mul_f32_e32 v43, v43, v133                               // 000000003AD8: 0A570B2B
	v_mul_f32_e32 v44, v44, v134                               // 000000003ADC: 0A590D2C
	v_mul_f32_e32 v45, v45, v135                               // 000000003AE0: 0A5B0F2D
	v_mul_f32_e64 v42, v42, s6                                 // 000000003AE4: D105002A 00000D2A
	v_mul_f32_e64 v43, v43, s6                                 // 000000003AEC: D105002B 00000D2B
	v_mul_f32_e64 v44, v44, s6                                 // 000000003AF4: D105002C 00000D2C
	v_mul_f32_e64 v45, v45, s6                                 // 000000003AFC: D105002D 00000D2D
	v_exp_f32_e32 v42, v42                                     // 000000003B04: 7E54412A
	v_exp_f32_e32 v43, v43                                     // 000000003B08: 7E56412B
	v_exp_f32_e32 v44, v44                                     // 000000003B0C: 7E58412C
	v_exp_f32_e32 v45, v45                                     // 000000003B10: 7E5A412D
	buffer_load_dwordx4 a[12:15], v37, s[12:15], 0 offen       // 000000003B14: E05C1000 80830C25
	s_add_u32 s12, s78, s12                                    // 000000003B1C: 800C0C4E
	s_addc_u32 s13, 0, s13                                     // 000000003B20: 820D0D80
	v_add_f32_e64 v42, v42, 1.0                                // 000000003B24: D101002A 0001E52A
	v_add_f32_e64 v43, v43, 1.0                                // 000000003B2C: D101002B 0001E52B
	v_add_f32_e64 v44, v44, 1.0                                // 000000003B34: D101002C 0001E52C
	v_add_f32_e64 v45, v45, 1.0                                // 000000003B3C: D101002D 0001E52D
	v_rcp_f32_e32 v42, v42                                     // 000000003B44: 7E54452A
	v_rcp_f32_e32 v43, v43                                     // 000000003B48: 7E56452B
	v_rcp_f32_e32 v44, v44                                     // 000000003B4C: 7E58452C
	v_rcp_f32_e32 v45, v45                                     // 000000003B50: 7E5A452D
	v_mul_f32_e32 v132, v132, v42                              // 000000003B54: 0B085584
	v_mul_f32_e32 v133, v133, v43                              // 000000003B58: 0B0A5785
	v_mul_f32_e32 v134, v134, v44                              // 000000003B5C: 0B0C5986
	v_mul_f32_e32 v135, v135, v45                              // 000000003B60: 0B0E5B87
	s_waitcnt vmcnt(4)                                         // 000000003B64: BF8C0F74
	buffer_load_dwordx4 a[16:19], v34, s[12:15], 0 offen       // 000000003B68: E05C1000 80831022
	v_mul_f32_e32 v42, v136, v136                              // 000000003B70: 0A551188
	v_mul_f32_e32 v43, v137, v137                              // 000000003B74: 0A571389
	v_mul_f32_e32 v44, v138, v138                              // 000000003B78: 0A59158A
	v_mul_f32_e32 v45, v139, v139                              // 000000003B7C: 0A5B178B
	v_fma_f32 v42, v42, s77, v1                                // 000000003B80: D1CB002A 04049B2A
	v_fma_f32 v43, v43, s77, v1                                // 000000003B88: D1CB002B 04049B2B
	v_fma_f32 v44, v44, s77, v1                                // 000000003B90: D1CB002C 04049B2C
	v_fma_f32 v45, v45, s77, v1                                // 000000003B98: D1CB002D 04049B2D
	v_mul_f32_e32 v42, v42, v136                               // 000000003BA0: 0A55112A
	v_mul_f32_e32 v43, v43, v137                               // 000000003BA4: 0A57132B
	v_mul_f32_e32 v44, v44, v138                               // 000000003BA8: 0A59152C
	v_mul_f32_e32 v45, v45, v139                               // 000000003BAC: 0A5B172D
	v_mul_f32_e64 v42, v42, s6                                 // 000000003BB0: D105002A 00000D2A
	v_mul_f32_e64 v43, v43, s6                                 // 000000003BB8: D105002B 00000D2B
	v_mul_f32_e64 v44, v44, s6                                 // 000000003BC0: D105002C 00000D2C
	v_mul_f32_e64 v45, v45, s6                                 // 000000003BC8: D105002D 00000D2D
	v_exp_f32_e32 v42, v42                                     // 000000003BD0: 7E54412A
	v_exp_f32_e32 v43, v43                                     // 000000003BD4: 7E56412B
	v_exp_f32_e32 v44, v44                                     // 000000003BD8: 7E58412C
	v_exp_f32_e32 v45, v45                                     // 000000003BDC: 7E5A412D
	buffer_load_dwordx4 a[20:23], v35, s[12:15], 0 offen       // 000000003BE0: E05C1000 80831423
	v_add_f32_e64 v42, v42, 1.0                                // 000000003BE8: D101002A 0001E52A
	v_add_f32_e64 v43, v43, 1.0                                // 000000003BF0: D101002B 0001E52B
	v_add_f32_e64 v44, v44, 1.0                                // 000000003BF8: D101002C 0001E52C
	v_add_f32_e64 v45, v45, 1.0                                // 000000003C00: D101002D 0001E52D
	v_rcp_f32_e32 v42, v42                                     // 000000003C08: 7E54452A
	v_rcp_f32_e32 v43, v43                                     // 000000003C0C: 7E56452B
	v_rcp_f32_e32 v44, v44                                     // 000000003C10: 7E58452C
	v_rcp_f32_e32 v45, v45                                     // 000000003C14: 7E5A452D
	v_mul_f32_e32 v136, v136, v42                              // 000000003C18: 0B105588
	v_mul_f32_e32 v137, v137, v43                              // 000000003C1C: 0B125789
	v_mul_f32_e32 v138, v138, v44                              // 000000003C20: 0B14598A
	v_mul_f32_e32 v139, v139, v45                              // 000000003C24: 0B165B8B
	buffer_load_dwordx4 a[24:27], v36, s[12:15], 0 offen       // 000000003C28: E05C1000 80831824
	v_mul_f32_e32 v42, v140, v140                              // 000000003C30: 0A55198C
	v_mul_f32_e32 v43, v141, v141                              // 000000003C34: 0A571B8D
	v_mul_f32_e32 v44, v142, v142                              // 000000003C38: 0A591D8E
	v_mul_f32_e32 v45, v143, v143                              // 000000003C3C: 0A5B1F8F
	v_fma_f32 v42, v42, s77, v1                                // 000000003C40: D1CB002A 04049B2A
	v_fma_f32 v43, v43, s77, v1                                // 000000003C48: D1CB002B 04049B2B
	v_fma_f32 v44, v44, s77, v1                                // 000000003C50: D1CB002C 04049B2C
	v_fma_f32 v45, v45, s77, v1                                // 000000003C58: D1CB002D 04049B2D
	v_mul_f32_e32 v42, v42, v140                               // 000000003C60: 0A55192A
	v_mul_f32_e32 v43, v43, v141                               // 000000003C64: 0A571B2B
	v_mul_f32_e32 v44, v44, v142                               // 000000003C68: 0A591D2C
	v_mul_f32_e32 v45, v45, v143                               // 000000003C6C: 0A5B1F2D
	v_mul_f32_e64 v42, v42, s6                                 // 000000003C70: D105002A 00000D2A
	v_mul_f32_e64 v43, v43, s6                                 // 000000003C78: D105002B 00000D2B
	v_mul_f32_e64 v44, v44, s6                                 // 000000003C80: D105002C 00000D2C
	v_mul_f32_e64 v45, v45, s6                                 // 000000003C88: D105002D 00000D2D
	v_exp_f32_e32 v42, v42                                     // 000000003C90: 7E54412A
	v_exp_f32_e32 v43, v43                                     // 000000003C94: 7E56412B
	v_exp_f32_e32 v44, v44                                     // 000000003C98: 7E58412C
	v_exp_f32_e32 v45, v45                                     // 000000003C9C: 7E5A412D
	buffer_load_dwordx4 a[28:31], v37, s[12:15], 0 offen       // 000000003CA0: E05C1000 80831C25
	v_add_f32_e64 v42, v42, 1.0                                // 000000003CA8: D101002A 0001E52A
	v_add_f32_e64 v43, v43, 1.0                                // 000000003CB0: D101002B 0001E52B
	v_add_f32_e64 v44, v44, 1.0                                // 000000003CB8: D101002C 0001E52C
	v_add_f32_e64 v45, v45, 1.0                                // 000000003CC0: D101002D 0001E52D
	v_rcp_f32_e32 v42, v42                                     // 000000003CC8: 7E54452A
	v_rcp_f32_e32 v43, v43                                     // 000000003CCC: 7E56452B
	v_rcp_f32_e32 v44, v44                                     // 000000003CD0: 7E58452C
	v_rcp_f32_e32 v45, v45                                     // 000000003CD4: 7E5A452D
	v_mul_f32_e32 v140, v140, v42                              // 000000003CD8: 0B18558C
	v_mul_f32_e32 v141, v141, v43                              // 000000003CDC: 0B1A578D
	v_mul_f32_e32 v142, v142, v44                              // 000000003CE0: 0B1C598E
	v_mul_f32_e32 v143, v143, v45                              // 000000003CE4: 0B1E5B8F
	v_mul_f32_dpp v128, v16, v128 row_newbcast:0 row_mask:0xf bank_mask:0xf// 000000003CE8: 0B0100FA FF015010
	v_mul_f32_dpp v129, v16, v129 row_newbcast:1 row_mask:0xf bank_mask:0xf// 000000003CF0: 0B0302FA FF015110
	v_mul_f32_dpp v130, v16, v130 row_newbcast:2 row_mask:0xf bank_mask:0xf// 000000003CF8: 0B0504FA FF015210
	v_mul_f32_dpp v131, v16, v131 row_newbcast:3 row_mask:0xf bank_mask:0xf// 000000003D00: 0B0706FA FF015310
	v_mul_f32_dpp v132, v16, v132 row_newbcast:0 row_mask:0xf bank_mask:0xf// 000000003D08: 0B0908FA FF015010
	v_mul_f32_dpp v133, v16, v133 row_newbcast:1 row_mask:0xf bank_mask:0xf// 000000003D10: 0B0B0AFA FF015110
	v_mul_f32_dpp v134, v16, v134 row_newbcast:2 row_mask:0xf bank_mask:0xf// 000000003D18: 0B0D0CFA FF015210
	v_mul_f32_dpp v135, v16, v135 row_newbcast:3 row_mask:0xf bank_mask:0xf// 000000003D20: 0B0F0EFA FF015310
	v_mul_f32_dpp v136, v16, v136 row_newbcast:4 row_mask:0xf bank_mask:0xf// 000000003D28: 0B1110FA FF015410
	v_mul_f32_dpp v137, v16, v137 row_newbcast:5 row_mask:0xf bank_mask:0xf// 000000003D30: 0B1312FA FF015510
	v_mul_f32_dpp v138, v16, v138 row_newbcast:6 row_mask:0xf bank_mask:0xf// 000000003D38: 0B1514FA FF015610
	v_mul_f32_dpp v139, v16, v139 row_newbcast:7 row_mask:0xf bank_mask:0xf// 000000003D40: 0B1716FA FF015710
	v_mul_f32_dpp v140, v16, v140 row_newbcast:4 row_mask:0xf bank_mask:0xf// 000000003D48: 0B1918FA FF015410
	v_mul_f32_dpp v141, v16, v141 row_newbcast:5 row_mask:0xf bank_mask:0xf// 000000003D50: 0B1B1AFA FF015510
	v_mul_f32_dpp v142, v16, v142 row_newbcast:6 row_mask:0xf bank_mask:0xf// 000000003D58: 0B1D1CFA FF015610
	v_mul_f32_dpp v143, v16, v143 row_newbcast:7 row_mask:0xf bank_mask:0xf// 000000003D60: 0B1F1EFA FF015710
	buffer_load_dword v11, v5, s[16:19], 0 offen               // 000000003D68: E0501000 80040B05
	v_mov_b32_e32 v20, 0x358637bd                              // 000000003D70: 7E2802FF 358637BD
	v_mov_b32_e32 v21, 0x358637bd                              // 000000003D78: 7E2A02FF 358637BD
	v_max3_f32 v20, |v128|, |v129|, v20                        // 000000003D80: D1D30314 04530380
	v_max3_f32 v20, |v130|, |v131|, v20                        // 000000003D88: D1D30314 04530782
	v_max3_f32 v21, |v132|, |v133|, v21                        // 000000003D90: D1D30315 04570B84
	v_max3_f32 v21, |v134|, |v135|, v21                        // 000000003D98: D1D30315 04570F86
	v_max3_f32 v20, |v136|, |v137|, v20                        // 000000003DA0: D1D30314 04531388
	v_max3_f32 v20, |v138|, |v139|, v20                        // 000000003DA8: D1D30314 0453178A
	v_max3_f32 v21, |v140|, |v141|, v21                        // 000000003DB0: D1D30315 04571B8C
	v_max3_f32 v21, |v142|, |v143|, v21                        // 000000003DB8: D1D30315 04571F8E
	v_lshlrev_b32_e32 v42, 3, v0                               // 000000003DC0: 24540083
	s_mul_i32 s60, 0x200, s7                                   // 000000003DC4: 923C07FF 00000200
	v_add_u32_e32 v42, s60, v42                                // 000000003DCC: 6854543C
	ds_write_b64 v42, v[20:21] offset:16640                    // 000000003DD0: D89A4100 0000142A
	s_waitcnt lgkmcnt(0)                                       // 000000003DD8: BF8CC07F
	s_barrier                                                  // 000000003DDC: BF8A0000
	v_and_b32_e32 v42, 15, v0                                  // 000000003DE0: 2654008F
	v_lshlrev_b32_e32 v42, 3, v42                              // 000000003DE4: 24545483
	ds_read_b64 v[96:97], v42 offset:16640                     // 000000003DE8: D8EC4100 6000002A
	ds_read_b64 v[98:99], v42 offset:16768                     // 000000003DF0: D8EC4180 6200002A
	ds_read_b64 v[100:101], v42 offset:16896                   // 000000003DF8: D8EC4200 6400002A
	ds_read_b64 v[102:103], v42 offset:17024                   // 000000003E00: D8EC4280 6600002A
	ds_read_b64 v[104:105], v42 offset:17152                   // 000000003E08: D8EC4300 6800002A
	ds_read_b64 v[106:107], v42 offset:17280                   // 000000003E10: D8EC4380 6A00002A
	ds_read_b64 v[108:109], v42 offset:17408                   // 000000003E18: D8EC4400 6C00002A
	ds_read_b64 v[110:111], v42 offset:17536                   // 000000003E20: D8EC4480 6E00002A
	ds_read_b64 v[112:113], v42 offset:17664                   // 000000003E28: D8EC4500 7000002A
	ds_read_b64 v[114:115], v42 offset:17792                   // 000000003E30: D8EC4580 7200002A
	ds_read_b64 v[116:117], v42 offset:17920                   // 000000003E38: D8EC4600 7400002A
	ds_read_b64 v[118:119], v42 offset:18048                   // 000000003E40: D8EC4680 7600002A
	ds_read_b64 v[120:121], v42 offset:18176                   // 000000003E48: D8EC4700 7800002A
	ds_read_b64 v[122:123], v42 offset:18304                   // 000000003E50: D8EC4780 7A00002A
	ds_read_b64 v[124:125], v42 offset:18432                   // 000000003E58: D8EC4800 7C00002A
	ds_read_b64 v[126:127], v42 offset:18560                   // 000000003E60: D8EC4880 7E00002A
	s_waitcnt lgkmcnt(0)                                       // 000000003E68: BF8CC07F
	v_max3_f32 v20, |v96|, |v98|, v20                          // 000000003E6C: D1D30314 0452C560
	v_max3_f32 v21, |v97|, |v99|, v21                          // 000000003E74: D1D30315 0456C761
	v_max3_f32 v20, |v100|, |v102|, v20                        // 000000003E7C: D1D30314 0452CD64
	v_max3_f32 v21, |v101|, |v103|, v21                        // 000000003E84: D1D30315 0456CF65
	v_max3_f32 v20, |v104|, |v106|, v20                        // 000000003E8C: D1D30314 0452D568
	v_max3_f32 v21, |v105|, |v107|, v21                        // 000000003E94: D1D30315 0456D769
	v_max3_f32 v20, |v108|, |v110|, v20                        // 000000003E9C: D1D30314 0452DD6C
	v_max3_f32 v21, |v109|, |v111|, v21                        // 000000003EA4: D1D30315 0456DF6D
	v_max3_f32 v20, |v112|, |v114|, v20                        // 000000003EAC: D1D30314 0452E570
	v_max3_f32 v21, |v113|, |v115|, v21                        // 000000003EB4: D1D30315 0456E771
	v_max3_f32 v20, |v116|, |v118|, v20                        // 000000003EBC: D1D30314 0452ED74
	v_max3_f32 v21, |v117|, |v119|, v21                        // 000000003EC4: D1D30315 0456EF75
	v_max3_f32 v20, |v120|, |v122|, v20                        // 000000003ECC: D1D30314 0452F578
	v_max3_f32 v21, |v121|, |v123|, v21                        // 000000003ED4: D1D30315 0456F779
	v_max3_f32 v20, |v124|, |v126|, v20                        // 000000003EDC: D1D30314 0452FD7C
	v_max3_f32 v21, |v125|, |v127|, v21                        // 000000003EE4: D1D30315 0456FF7D
	v_rcp_f32_e32 v20, v20                                     // 000000003EEC: 7E284514
	v_rcp_f32_e32 v21, v21                                     // 000000003EF0: 7E2A4515
	v_mul_f32_e32 v20, 0x42fe0000, v20                         // 000000003EF4: 0A2828FF 42FE0000
	v_mul_f32_e32 v21, 0x42fe0000, v21                         // 000000003EFC: 0A2A2AFF 42FE0000
	v_mul_f32_e32 v128, v20, v128                              // 000000003F04: 0B010114
	v_mul_f32_e32 v129, v20, v129                              // 000000003F08: 0B030314
	v_mul_f32_e32 v130, v20, v130                              // 000000003F0C: 0B050514
	v_mul_f32_e32 v131, v20, v131                              // 000000003F10: 0B070714
	v_cvt_i32_f32_e32 v128, v128                               // 000000003F14: 7F001180
	v_cvt_i32_f32_e32 v129, v129                               // 000000003F18: 7F021181
	v_cvt_i32_f32_e32 v130, v130                               // 000000003F1C: 7F041182
	v_cvt_i32_f32_e32 v131, v131                               // 000000003F20: 7F061183
	v_perm_b32 v128, v129, v128, s53                           // 000000003F24: D1ED0080 00D70181
	v_perm_b32 v128, v130, v128, s54                           // 000000003F2C: D1ED0080 00DB0182
	v_perm_b32 v128, v131, v128, s55                           // 000000003F34: D1ED0080 00DF0183
	v_mul_f32_e32 v132, v21, v132                              // 000000003F3C: 0B090915
	v_mul_f32_e32 v133, v21, v133                              // 000000003F40: 0B0B0B15
	v_mul_f32_e32 v134, v21, v134                              // 000000003F44: 0B0D0D15
	v_mul_f32_e32 v135, v21, v135                              // 000000003F48: 0B0F0F15
	v_cvt_i32_f32_e32 v132, v132                               // 000000003F4C: 7F081184
	v_cvt_i32_f32_e32 v133, v133                               // 000000003F50: 7F0A1185
	v_cvt_i32_f32_e32 v134, v134                               // 000000003F54: 7F0C1186
	v_cvt_i32_f32_e32 v135, v135                               // 000000003F58: 7F0E1187
	v_perm_b32 v129, v133, v132, s53                           // 000000003F5C: D1ED0081 00D70985
	v_perm_b32 v129, v134, v129, s54                           // 000000003F64: D1ED0081 00DB0386
	v_perm_b32 v129, v135, v129, s55                           // 000000003F6C: D1ED0081 00DF0387
	v_mul_f32_e32 v136, v20, v136                              // 000000003F74: 0B111114
	v_mul_f32_e32 v137, v20, v137                              // 000000003F78: 0B131314
	v_mul_f32_e32 v138, v20, v138                              // 000000003F7C: 0B151514
	v_mul_f32_e32 v139, v20, v139                              // 000000003F80: 0B171714
	v_cvt_i32_f32_e32 v136, v136                               // 000000003F84: 7F101188
	v_cvt_i32_f32_e32 v137, v137                               // 000000003F88: 7F121189
	v_cvt_i32_f32_e32 v138, v138                               // 000000003F8C: 7F14118A
	v_cvt_i32_f32_e32 v139, v139                               // 000000003F90: 7F16118B
	v_perm_b32 v130, v137, v136, s53                           // 000000003F94: D1ED0082 00D71189
	v_perm_b32 v130, v138, v130, s54                           // 000000003F9C: D1ED0082 00DB058A
	v_perm_b32 v130, v139, v130, s55                           // 000000003FA4: D1ED0082 00DF058B
	v_mul_f32_e32 v140, v21, v140                              // 000000003FAC: 0B191915
	v_mul_f32_e32 v141, v21, v141                              // 000000003FB0: 0B1B1B15
	v_mul_f32_e32 v142, v21, v142                              // 000000003FB4: 0B1D1D15
	v_mul_f32_e32 v143, v21, v143                              // 000000003FB8: 0B1F1F15
	v_cvt_i32_f32_e32 v140, v140                               // 000000003FBC: 7F18118C
	v_cvt_i32_f32_e32 v141, v141                               // 000000003FC0: 7F1A118D
	v_cvt_i32_f32_e32 v142, v142                               // 000000003FC4: 7F1C118E
	v_cvt_i32_f32_e32 v143, v143                               // 000000003FC8: 7F1E118F
	v_perm_b32 v131, v141, v140, s53                           // 000000003FCC: D1ED0083 00D7198D
	v_perm_b32 v131, v142, v131, s54                           // 000000003FD4: D1ED0083 00DB078E
	v_perm_b32 v131, v143, v131, s55                           // 000000003FDC: D1ED0083 00DF078F
	v_rcp_f32_e32 v22, v20                                     // 000000003FE4: 7E2C4514
	v_rcp_f32_e32 v23, v21                                     // 000000003FE8: 7E2E4515
	v_lshrrev_b32_e32 v42, 5, v0                               // 000000003FEC: 20540085
	v_lshlrev_b32_e32 v43, 5, v42                              // 000000003FF0: 24565485
	v_and_b32_e32 v42, 31, v0                                  // 000000003FF4: 2654009F
	v_lshrrev_b32_e32 v44, 4, v42                              // 000000003FF8: 20585484
	v_add_u32_e32 v43, v44, v43                                // 000000003FFC: 6856572C
	v_and_b32_e32 v42, 15, v0                                  // 000000004000: 2654008F
	v_lshlrev_b32_e32 v42, 1, v42                              // 000000004004: 24545481
	v_add_u32_e32 v43, v42, v43                                // 000000004008: 6856572A
	v_lshlrev_b32_e32 v42, 2, v43                              // 00000000400C: 24545682
	s_mul_i32 s60, 0x100, s7                                   // 000000004010: 923C07FF 00000100
	v_add_u32_e64 v42, v42, s60                                // 000000004018: D134002A 0000792A
	ds_write_b32 v42, v128 offset:18688                        // 000000004020: D81A4900 0000802A
	ds_write_b32 v42, v129 offset:20736                        // 000000004028: D81A5100 0000812A
	ds_write_b32 v42, v130 offset:19712                        // 000000004030: D81A4D00 0000822A
	ds_write_b32 v42, v131 offset:21760                        // 000000004038: D81A5500 0000832A
	s_waitcnt lgkmcnt(0)                                       // 000000004040: BF8CC07F
	s_barrier                                                  // 000000004044: BF8A0000
	v_lshrrev_b32_e32 v42, 4, v0                               // 000000004048: 20540084
	v_lshlrev_b32_e32 v43, 6, v42                              // 00000000404C: 24565486
	v_and_b32_e32 v42, 15, v0                                  // 000000004050: 2654008F
	v_lshlrev_b32_e32 v42, 1, v42                              // 000000004054: 24545481
	v_add_u32_e32 v43, v42, v43                                // 000000004058: 6856572A
	v_lshlrev_b32_e32 v42, 2, v43                              // 00000000405C: 24545682
	ds_read_b64 v[128:129], v42 offset:18688                   // 000000004060: D8EC4900 8000002A
	ds_read_b64 v[130:131], v42 offset:18816                   // 000000004068: D8EC4980 8200002A
	ds_read_b64 v[132:133], v42 offset:19712                   // 000000004070: D8EC4D00 8400002A
	ds_read_b64 v[134:135], v42 offset:19840                   // 000000004078: D8EC4D80 8600002A
	ds_read_b64 v[136:137], v42 offset:20736                   // 000000004080: D8EC5100 8800002A
	ds_read_b64 v[138:139], v42 offset:20864                   // 000000004088: D8EC5180 8A00002A
	ds_read_b64 v[140:141], v42 offset:21760                   // 000000004090: D8EC5500 8C00002A
	ds_read_b64 v[142:143], v42 offset:21888                   // 000000004098: D8EC5580 8E00002A
	s_add_u32 s12, s56, s12                                    // 0000000040A0: 800C0C38
	s_addc_u32 s13, 0, s13                                     // 0000000040A4: 820D0D80
	s_add_u32 s16, s79, s16                                    // 0000000040A8: 8010104F
	s_addc_u32 s17, 0, s17                                     // 0000000040AC: 82111180
	s_mov_b32 s80, 0                                           // 0000000040B0: BED00080
	s_waitcnt vmcnt(0) expcnt(0) lgkmcnt(0)                    // 0000000040B4: BF8C0000

00000000000040b8 <label_056E>:
	s_waitcnt vmcnt(21)                                        // 0000000040B8: BF8C4F75
	s_barrier                                                  // 0000000040BC: BF8A0000
	v_mfma_i32_16x16x32_i8 v[144:147], a[0:1], v[128:129], 0   // 0000000040C0: D3D70090 0A030100
	v_mfma_i32_16x16x32_i8 v[144:147], a[2:3], v[130:131], v[144:147]// 0000000040C8: D3D70090 0E430502
	buffer_load_dwordx4 a[32:35], v34, s[12:15], 0 offen       // 0000000040D0: E05C1000 80832022
	v_mfma_i32_16x16x32_i8 v[148:151], a[0:1], v[136:137], 0   // 0000000040D8: D3D70094 0A031100
	v_mfma_i32_16x16x32_i8 v[148:151], a[2:3], v[138:139], v[148:151]// 0000000040E0: D3D70094 0E531502
	v_mfma_i32_16x16x32_i8 v[152:155], a[4:5], v[128:129], 0   // 0000000040E8: D3D70098 0A030104
	v_mfma_i32_16x16x32_i8 v[152:155], a[6:7], v[130:131], v[152:155]// 0000000040F0: D3D70098 0E630506
	buffer_load_dwordx4 a[36:39], v35, s[12:15], 0 offen       // 0000000040F8: E05C1000 80832423
	v_mfma_i32_16x16x32_i8 v[156:159], a[4:5], v[136:137], 0   // 000000004100: D3D7009C 0A031104
	v_mfma_i32_16x16x32_i8 v[156:159], a[6:7], v[138:139], v[156:159]// 000000004108: D3D7009C 0E731506
	v_mfma_i32_16x16x32_i8 v[160:163], a[8:9], v[128:129], 0   // 000000004110: D3D700A0 0A030108
	v_mfma_i32_16x16x32_i8 v[160:163], a[10:11], v[130:131], v[160:163]// 000000004118: D3D700A0 0E83050A
	buffer_load_dwordx4 a[40:43], v36, s[12:15], 0 offen       // 000000004120: E05C1000 80832824
	v_mfma_i32_16x16x32_i8 v[164:167], a[8:9], v[136:137], 0   // 000000004128: D3D700A4 0A031108
	v_mfma_i32_16x16x32_i8 v[164:167], a[10:11], v[138:139], v[164:167]// 000000004130: D3D700A4 0E93150A
	v_mfma_i32_16x16x32_i8 v[168:171], a[12:13], v[128:129], 0 // 000000004138: D3D700A8 0A03010C
	v_mfma_i32_16x16x32_i8 v[168:171], a[14:15], v[130:131], v[168:171]// 000000004140: D3D700A8 0EA3050E
	buffer_load_dwordx4 a[44:47], v37, s[12:15], 0 offen       // 000000004148: E05C1000 80832C25
	s_add_u32 s12, s78, s12                                    // 000000004150: 800C0C4E
	s_addc_u32 s13, 0, s13                                     // 000000004154: 820D0D80
	v_mfma_i32_16x16x32_i8 v[172:175], a[12:13], v[136:137], 0 // 000000004158: D3D700AC 0A03110C
	v_mfma_i32_16x16x32_i8 v[172:175], a[14:15], v[138:139], v[172:175]// 000000004160: D3D700AC 0EB3150E
	s_waitcnt vmcnt(20)                                        // 000000004168: BF8C4F74
	v_mfma_i32_16x16x32_i8 v[144:147], a[16:17], v[132:133], v[144:147]// 00000000416C: D3D70090 0E430910
	v_mfma_i32_16x16x32_i8 v[144:147], a[18:19], v[134:135], v[144:147]// 000000004174: D3D70090 0E430D12
	buffer_load_dwordx4 a[48:51], v34, s[12:15], 0 offen       // 00000000417C: E05C1000 80833022
	v_mfma_i32_16x16x32_i8 v[148:151], a[16:17], v[140:141], v[148:151]// 000000004184: D3D70094 0E531910
	v_mfma_i32_16x16x32_i8 v[148:151], a[18:19], v[142:143], v[148:151]// 00000000418C: D3D70094 0E531D12
	buffer_load_dword v12, v5, s[16:19], 0 offen               // 000000004194: E0501000 80040C05
	v_mfma_i32_16x16x32_i8 v[152:155], a[20:21], v[132:133], v[152:155]// 00000000419C: D3D70098 0E630914
	v_mfma_i32_16x16x32_i8 v[152:155], a[22:23], v[134:135], v[152:155]// 0000000041A4: D3D70098 0E630D16
	buffer_load_dwordx4 a[52:55], v35, s[12:15], 0 offen       // 0000000041AC: E05C1000 80833423
	v_mfma_i32_16x16x32_i8 v[156:159], a[20:21], v[140:141], v[156:159]// 0000000041B4: D3D7009C 0E731914
	v_mfma_i32_16x16x32_i8 v[156:159], a[22:23], v[142:143], v[156:159]// 0000000041BC: D3D7009C 0E731D16
	v_mfma_i32_16x16x32_i8 v[160:163], a[24:25], v[132:133], v[160:163]// 0000000041C4: D3D700A0 0E830918
	v_mfma_i32_16x16x32_i8 v[160:163], a[26:27], v[134:135], v[160:163]// 0000000041CC: D3D700A0 0E830D1A
	buffer_load_dwordx4 a[56:59], v36, s[12:15], 0 offen       // 0000000041D4: E05C1000 80833824
	v_mfma_i32_16x16x32_i8 v[164:167], a[24:25], v[140:141], v[164:167]// 0000000041DC: D3D700A4 0E931918
	v_mfma_i32_16x16x32_i8 v[164:167], a[26:27], v[142:143], v[164:167]// 0000000041E4: D3D700A4 0E931D1A
	v_mfma_i32_16x16x32_i8 v[168:171], a[28:29], v[132:133], v[168:171]// 0000000041EC: D3D700A8 0EA3091C
	v_mfma_i32_16x16x32_i8 v[168:171], a[30:31], v[134:135], v[168:171]// 0000000041F4: D3D700A8 0EA30D1E
	buffer_load_dwordx4 a[60:63], v37, s[12:15], 0 offen       // 0000000041FC: E05C1000 80833C25
	v_mfma_i32_16x16x32_i8 v[172:175], a[28:29], v[140:141], v[172:175]// 000000004204: D3D700AC 0EB3191C
	v_mfma_i32_16x16x32_i8 v[172:175], a[30:31], v[142:143], v[172:175]// 00000000420C: D3D700AC 0EB31D1E
	s_add_u32 s60, 0x200, s80                                  // 000000004214: 803C50FF 00000200
	s_cmp_lt_u32 s60, s81                                      // 00000000421C: BF0A513C
	s_cselect_b32 s56, s56, 0                                  // 000000004220: 85388038
	s_cselect_b32 s78, s78, 0                                  // 000000004224: 854E804E
	s_cselect_b32 s79, s79, 0                                  // 000000004228: 854F804F
	s_add_u32 s12, s56, s12                                    // 00000000422C: 800C0C38
	s_addc_u32 s13, 0, s13                                     // 000000004230: 820D0D80
	s_add_u32 s16, s79, s16                                    // 000000004234: 8010104F
	s_addc_u32 s17, 0, s17                                     // 000000004238: 82111180
	v_cvt_f32_i32_e32 v144, v144                               // 00000000423C: 7F200B90
	v_cvt_f32_i32_e32 v145, v145                               // 000000004240: 7F220B91
	v_cvt_f32_i32_e32 v146, v146                               // 000000004244: 7F240B92
	v_cvt_f32_i32_e32 v147, v147                               // 000000004248: 7F260B93
	v_mul_f32_e32 v144, v22, v144                              // 00000000424C: 0B212116
	v_mul_f32_e32 v145, v22, v145                              // 000000004250: 0B232316
	v_mul_f32_e32 v146, v22, v146                              // 000000004254: 0B252516
	v_mul_f32_e32 v147, v22, v147                              // 000000004258: 0B272716
	v_mul_f32_dpp v144, v11, v144 row_newbcast:0 row_mask:0xf bank_mask:0xf// 00000000425C: 0B2120FA FF01500B
	v_mul_f32_dpp v145, v11, v145 row_newbcast:1 row_mask:0xf bank_mask:0xf// 000000004264: 0B2322FA FF01510B
	v_mul_f32_dpp v146, v11, v146 row_newbcast:2 row_mask:0xf bank_mask:0xf// 00000000426C: 0B2524FA FF01520B
	v_mul_f32_dpp v147, v11, v147 row_newbcast:3 row_mask:0xf bank_mask:0xf// 000000004274: 0B2726FA FF01530B
	v_mul_f32_e32 v144, v17, v144                              // 00000000427C: 0B212111
	v_mul_f32_e32 v145, v17, v145                              // 000000004280: 0B232311
	v_mul_f32_e32 v146, v17, v146                              // 000000004284: 0B252511
	v_mul_f32_e32 v147, v17, v147                              // 000000004288: 0B272711
	v_cvt_f32_i32_e32 v148, v148                               // 00000000428C: 7F280B94
	v_cvt_f32_i32_e32 v149, v149                               // 000000004290: 7F2A0B95
	v_cvt_f32_i32_e32 v150, v150                               // 000000004294: 7F2C0B96
	v_cvt_f32_i32_e32 v151, v151                               // 000000004298: 7F2E0B97
	v_mul_f32_e32 v148, v23, v148                              // 00000000429C: 0B292917
	v_mul_f32_e32 v149, v23, v149                              // 0000000042A0: 0B2B2B17
	v_mul_f32_e32 v150, v23, v150                              // 0000000042A4: 0B2D2D17
	v_mul_f32_e32 v151, v23, v151                              // 0000000042A8: 0B2F2F17
	v_mul_f32_dpp v148, v11, v148 row_newbcast:0 row_mask:0xf bank_mask:0xf// 0000000042AC: 0B2928FA FF01500B
	v_mul_f32_dpp v149, v11, v149 row_newbcast:1 row_mask:0xf bank_mask:0xf// 0000000042B4: 0B2B2AFA FF01510B
	v_mul_f32_dpp v150, v11, v150 row_newbcast:2 row_mask:0xf bank_mask:0xf// 0000000042BC: 0B2D2CFA FF01520B
	v_mul_f32_dpp v151, v11, v151 row_newbcast:3 row_mask:0xf bank_mask:0xf// 0000000042C4: 0B2F2EFA FF01530B
	v_mul_f32_e32 v148, v18, v148                              // 0000000042CC: 0B292912
	v_mul_f32_e32 v149, v18, v149                              // 0000000042D0: 0B2B2B12
	v_mul_f32_e32 v150, v18, v150                              // 0000000042D4: 0B2D2D12
	v_mul_f32_e32 v151, v18, v151                              // 0000000042D8: 0B2F2F12
	v_cvt_f32_i32_e32 v152, v152                               // 0000000042DC: 7F300B98
	v_cvt_f32_i32_e32 v153, v153                               // 0000000042E0: 7F320B99
	v_cvt_f32_i32_e32 v154, v154                               // 0000000042E4: 7F340B9A
	v_cvt_f32_i32_e32 v155, v155                               // 0000000042E8: 7F360B9B
	v_mul_f32_e32 v152, v22, v152                              // 0000000042EC: 0B313116
	v_mul_f32_e32 v153, v22, v153                              // 0000000042F0: 0B333316
	v_mul_f32_e32 v154, v22, v154                              // 0000000042F4: 0B353516
	v_mul_f32_e32 v155, v22, v155                              // 0000000042F8: 0B373716
	v_mul_f32_dpp v152, v11, v152 row_newbcast:4 row_mask:0xf bank_mask:0xf// 0000000042FC: 0B3130FA FF01540B
	v_mul_f32_dpp v153, v11, v153 row_newbcast:5 row_mask:0xf bank_mask:0xf// 000000004304: 0B3332FA FF01550B
	v_mul_f32_dpp v154, v11, v154 row_newbcast:6 row_mask:0xf bank_mask:0xf// 00000000430C: 0B3534FA FF01560B
	v_mul_f32_dpp v155, v11, v155 row_newbcast:7 row_mask:0xf bank_mask:0xf// 000000004314: 0B3736FA FF01570B
	v_mul_f32_e32 v152, v17, v152                              // 00000000431C: 0B313111
	v_mul_f32_e32 v153, v17, v153                              // 000000004320: 0B333311
	v_mul_f32_e32 v154, v17, v154                              // 000000004324: 0B353511
	v_mul_f32_e32 v155, v17, v155                              // 000000004328: 0B373711
	v_cvt_f32_i32_e32 v156, v156                               // 00000000432C: 7F380B9C
	v_cvt_f32_i32_e32 v157, v157                               // 000000004330: 7F3A0B9D
	v_cvt_f32_i32_e32 v158, v158                               // 000000004334: 7F3C0B9E
	v_cvt_f32_i32_e32 v159, v159                               // 000000004338: 7F3E0B9F
	v_mul_f32_e32 v156, v23, v156                              // 00000000433C: 0B393917
	v_mul_f32_e32 v157, v23, v157                              // 000000004340: 0B3B3B17
	v_mul_f32_e32 v158, v23, v158                              // 000000004344: 0B3D3D17
	v_mul_f32_e32 v159, v23, v159                              // 000000004348: 0B3F3F17
	v_mul_f32_dpp v156, v11, v156 row_newbcast:4 row_mask:0xf bank_mask:0xf// 00000000434C: 0B3938FA FF01540B
	v_mul_f32_dpp v157, v11, v157 row_newbcast:5 row_mask:0xf bank_mask:0xf// 000000004354: 0B3B3AFA FF01550B
	v_mul_f32_dpp v158, v11, v158 row_newbcast:6 row_mask:0xf bank_mask:0xf// 00000000435C: 0B3D3CFA FF01560B
	v_mul_f32_dpp v159, v11, v159 row_newbcast:7 row_mask:0xf bank_mask:0xf// 000000004364: 0B3F3EFA FF01570B
	v_mul_f32_e32 v156, v18, v156                              // 00000000436C: 0B393912
	v_mul_f32_e32 v157, v18, v157                              // 000000004370: 0B3B3B12
	v_mul_f32_e32 v158, v18, v158                              // 000000004374: 0B3D3D12
	v_mul_f32_e32 v159, v18, v159                              // 000000004378: 0B3F3F12
	v_cvt_f32_i32_e32 v160, v160                               // 00000000437C: 7F400BA0
	v_cvt_f32_i32_e32 v161, v161                               // 000000004380: 7F420BA1
	v_cvt_f32_i32_e32 v162, v162                               // 000000004384: 7F440BA2
	v_cvt_f32_i32_e32 v163, v163                               // 000000004388: 7F460BA3
	v_mul_f32_e32 v160, v22, v160                              // 00000000438C: 0B414116
	v_mul_f32_e32 v161, v22, v161                              // 000000004390: 0B434316
	v_mul_f32_e32 v162, v22, v162                              // 000000004394: 0B454516
	v_mul_f32_e32 v163, v22, v163                              // 000000004398: 0B474716
	v_mul_f32_dpp v160, v11, v160 row_newbcast:8 row_mask:0xf bank_mask:0xf// 00000000439C: 0B4140FA FF01580B
	v_mul_f32_dpp v161, v11, v161 row_newbcast:9 row_mask:0xf bank_mask:0xf// 0000000043A4: 0B4342FA FF01590B
	v_mul_f32_dpp v162, v11, v162 row_newbcast:10 row_mask:0xf bank_mask:0xf// 0000000043AC: 0B4544FA FF015A0B
	v_mul_f32_dpp v163, v11, v163 row_newbcast:11 row_mask:0xf bank_mask:0xf// 0000000043B4: 0B4746FA FF015B0B
	v_mul_f32_e32 v160, v17, v160                              // 0000000043BC: 0B414111
	v_mul_f32_e32 v161, v17, v161                              // 0000000043C0: 0B434311
	v_mul_f32_e32 v162, v17, v162                              // 0000000043C4: 0B454511
	v_mul_f32_e32 v163, v17, v163                              // 0000000043C8: 0B474711
	v_cvt_f32_i32_e32 v164, v164                               // 0000000043CC: 7F480BA4
	v_cvt_f32_i32_e32 v165, v165                               // 0000000043D0: 7F4A0BA5
	v_cvt_f32_i32_e32 v166, v166                               // 0000000043D4: 7F4C0BA6
	v_cvt_f32_i32_e32 v167, v167                               // 0000000043D8: 7F4E0BA7
	v_mul_f32_e32 v164, v23, v164                              // 0000000043DC: 0B494917
	v_mul_f32_e32 v165, v23, v165                              // 0000000043E0: 0B4B4B17
	v_mul_f32_e32 v166, v23, v166                              // 0000000043E4: 0B4D4D17
	v_mul_f32_e32 v167, v23, v167                              // 0000000043E8: 0B4F4F17
	v_mul_f32_dpp v164, v11, v164 row_newbcast:8 row_mask:0xf bank_mask:0xf// 0000000043EC: 0B4948FA FF01580B
	v_mul_f32_dpp v165, v11, v165 row_newbcast:9 row_mask:0xf bank_mask:0xf// 0000000043F4: 0B4B4AFA FF01590B
	v_mul_f32_dpp v166, v11, v166 row_newbcast:10 row_mask:0xf bank_mask:0xf// 0000000043FC: 0B4D4CFA FF015A0B
	v_mul_f32_dpp v167, v11, v167 row_newbcast:11 row_mask:0xf bank_mask:0xf// 000000004404: 0B4F4EFA FF015B0B
	v_mul_f32_e32 v164, v18, v164                              // 00000000440C: 0B494912
	v_mul_f32_e32 v165, v18, v165                              // 000000004410: 0B4B4B12
	v_mul_f32_e32 v166, v18, v166                              // 000000004414: 0B4D4D12
	v_mul_f32_e32 v167, v18, v167                              // 000000004418: 0B4F4F12
	v_cvt_f32_i32_e32 v168, v168                               // 00000000441C: 7F500BA8
	v_cvt_f32_i32_e32 v169, v169                               // 000000004420: 7F520BA9
	v_cvt_f32_i32_e32 v170, v170                               // 000000004424: 7F540BAA
	v_cvt_f32_i32_e32 v171, v171                               // 000000004428: 7F560BAB
	v_mul_f32_e32 v168, v22, v168                              // 00000000442C: 0B515116
	v_mul_f32_e32 v169, v22, v169                              // 000000004430: 0B535316
	v_mul_f32_e32 v170, v22, v170                              // 000000004434: 0B555516
	v_mul_f32_e32 v171, v22, v171                              // 000000004438: 0B575716
	v_mul_f32_dpp v168, v11, v168 row_newbcast:12 row_mask:0xf bank_mask:0xf// 00000000443C: 0B5150FA FF015C0B
	v_mul_f32_dpp v169, v11, v169 row_newbcast:13 row_mask:0xf bank_mask:0xf// 000000004444: 0B5352FA FF015D0B
	v_mul_f32_dpp v170, v11, v170 row_newbcast:14 row_mask:0xf bank_mask:0xf// 00000000444C: 0B5554FA FF015E0B
	v_mul_f32_dpp v171, v11, v171 row_newbcast:15 row_mask:0xf bank_mask:0xf// 000000004454: 0B5756FA FF015F0B
	v_mul_f32_e32 v168, v17, v168                              // 00000000445C: 0B515111
	v_mul_f32_e32 v169, v17, v169                              // 000000004460: 0B535311
	v_mul_f32_e32 v170, v17, v170                              // 000000004464: 0B555511
	v_mul_f32_e32 v171, v17, v171                              // 000000004468: 0B575711
	v_cvt_f32_i32_e32 v172, v172                               // 00000000446C: 7F580BAC
	v_cvt_f32_i32_e32 v173, v173                               // 000000004470: 7F5A0BAD
	v_cvt_f32_i32_e32 v174, v174                               // 000000004474: 7F5C0BAE
	v_cvt_f32_i32_e32 v175, v175                               // 000000004478: 7F5E0BAF
	v_mul_f32_e32 v172, v23, v172                              // 00000000447C: 0B595917
	v_mul_f32_e32 v173, v23, v173                              // 000000004480: 0B5B5B17
	v_mul_f32_e32 v174, v23, v174                              // 000000004484: 0B5D5D17
	v_mul_f32_e32 v175, v23, v175                              // 000000004488: 0B5F5F17
	v_mul_f32_dpp v172, v11, v172 row_newbcast:12 row_mask:0xf bank_mask:0xf// 00000000448C: 0B5958FA FF015C0B
	v_mul_f32_dpp v173, v11, v173 row_newbcast:13 row_mask:0xf bank_mask:0xf// 000000004494: 0B5B5AFA FF015D0B
	v_mul_f32_dpp v174, v11, v174 row_newbcast:14 row_mask:0xf bank_mask:0xf// 00000000449C: 0B5D5CFA FF015E0B
	v_mul_f32_dpp v175, v11, v175 row_newbcast:15 row_mask:0xf bank_mask:0xf// 0000000044A4: 0B5F5EFA FF015F0B
	v_mul_f32_e32 v172, v18, v172                              // 0000000044AC: 0B595912
	v_mul_f32_e32 v173, v18, v173                              // 0000000044B0: 0B5B5B12
	v_mul_f32_e32 v174, v18, v174                              // 0000000044B4: 0B5D5D12
	v_mul_f32_e32 v175, v18, v175                              // 0000000044B8: 0B5F5F12
	v_cmp_u_f32_e64 s[48:49], v144, v144                       // 0000000044BC: D0480030 00032190
	v_add3_u32 v38, v144, v41, 1                               // 0000000044C4: D1FF0026 02065390
	v_cndmask_b32_e64 v42, v38, v40, s[48:49]                  // 0000000044CC: D100002A 00C25126
	v_cmp_u_f32_e64 s[48:49], v145, v145                       // 0000000044D4: D0480030 00032391
	v_add3_u32 v38, v145, v41, 1                               // 0000000044DC: D1FF0026 02065391
	v_cndmask_b32_e64 v43, v38, v40, s[48:49]                  // 0000000044E4: D100002B 00C25126
	v_perm_b32 v144, v43, v42, s52                             // 0000000044EC: D1ED0090 00D2552B
	v_cmp_u_f32_e64 s[48:49], v146, v146                       // 0000000044F4: D0480030 00032592
	v_add3_u32 v38, v146, v41, 1                               // 0000000044FC: D1FF0026 02065392
	v_cndmask_b32_e64 v42, v38, v40, s[48:49]                  // 000000004504: D100002A 00C25126
	v_cmp_u_f32_e64 s[48:49], v147, v147                       // 00000000450C: D0480030 00032793
	v_add3_u32 v38, v147, v41, 1                               // 000000004514: D1FF0026 02065393
	v_cndmask_b32_e64 v43, v38, v40, s[48:49]                  // 00000000451C: D100002B 00C25126
	v_perm_b32 v145, v43, v42, s52                             // 000000004524: D1ED0091 00D2552B
	v_cmp_u_f32_e64 s[48:49], v148, v148                       // 00000000452C: D0480030 00032994
	v_add3_u32 v38, v148, v41, 1                               // 000000004534: D1FF0026 02065394
	v_cndmask_b32_e64 v42, v38, v40, s[48:49]                  // 00000000453C: D100002A 00C25126
	v_cmp_u_f32_e64 s[48:49], v149, v149                       // 000000004544: D0480030 00032B95
	v_add3_u32 v38, v149, v41, 1                               // 00000000454C: D1FF0026 02065395
	v_cndmask_b32_e64 v43, v38, v40, s[48:49]                  // 000000004554: D100002B 00C25126
	v_perm_b32 v146, v43, v42, s52                             // 00000000455C: D1ED0092 00D2552B
	v_cmp_u_f32_e64 s[48:49], v150, v150                       // 000000004564: D0480030 00032D96
	v_add3_u32 v38, v150, v41, 1                               // 00000000456C: D1FF0026 02065396
	v_cndmask_b32_e64 v42, v38, v40, s[48:49]                  // 000000004574: D100002A 00C25126
	v_cmp_u_f32_e64 s[48:49], v151, v151                       // 00000000457C: D0480030 00032F97
	v_add3_u32 v38, v151, v41, 1                               // 000000004584: D1FF0026 02065397
	v_cndmask_b32_e64 v43, v38, v40, s[48:49]                  // 00000000458C: D100002B 00C25126
	v_perm_b32 v147, v43, v42, s52                             // 000000004594: D1ED0093 00D2552B
	v_cmp_u_f32_e64 s[48:49], v152, v152                       // 00000000459C: D0480030 00033198
	v_add3_u32 v38, v152, v41, 1                               // 0000000045A4: D1FF0026 02065398
	v_cndmask_b32_e64 v42, v38, v40, s[48:49]                  // 0000000045AC: D100002A 00C25126
	v_cmp_u_f32_e64 s[48:49], v153, v153                       // 0000000045B4: D0480030 00033399
	v_add3_u32 v38, v153, v41, 1                               // 0000000045BC: D1FF0026 02065399
	v_cndmask_b32_e64 v43, v38, v40, s[48:49]                  // 0000000045C4: D100002B 00C25126
	v_perm_b32 v148, v43, v42, s52                             // 0000000045CC: D1ED0094 00D2552B
	v_cmp_u_f32_e64 s[48:49], v154, v154                       // 0000000045D4: D0480030 0003359A
	v_add3_u32 v38, v154, v41, 1                               // 0000000045DC: D1FF0026 0206539A
	v_cndmask_b32_e64 v42, v38, v40, s[48:49]                  // 0000000045E4: D100002A 00C25126
	v_cmp_u_f32_e64 s[48:49], v155, v155                       // 0000000045EC: D0480030 0003379B
	v_add3_u32 v38, v155, v41, 1                               // 0000000045F4: D1FF0026 0206539B
	v_cndmask_b32_e64 v43, v38, v40, s[48:49]                  // 0000000045FC: D100002B 00C25126
	v_perm_b32 v149, v43, v42, s52                             // 000000004604: D1ED0095 00D2552B
	v_cmp_u_f32_e64 s[48:49], v156, v156                       // 00000000460C: D0480030 0003399C
	v_add3_u32 v38, v156, v41, 1                               // 000000004614: D1FF0026 0206539C
	v_cndmask_b32_e64 v42, v38, v40, s[48:49]                  // 00000000461C: D100002A 00C25126
	v_cmp_u_f32_e64 s[48:49], v157, v157                       // 000000004624: D0480030 00033B9D
	v_add3_u32 v38, v157, v41, 1                               // 00000000462C: D1FF0026 0206539D
	v_cndmask_b32_e64 v43, v38, v40, s[48:49]                  // 000000004634: D100002B 00C25126
	v_perm_b32 v150, v43, v42, s52                             // 00000000463C: D1ED0096 00D2552B
	v_cmp_u_f32_e64 s[48:49], v158, v158                       // 000000004644: D0480030 00033D9E
	v_add3_u32 v38, v158, v41, 1                               // 00000000464C: D1FF0026 0206539E
	v_cndmask_b32_e64 v42, v38, v40, s[48:49]                  // 000000004654: D100002A 00C25126
	v_cmp_u_f32_e64 s[48:49], v159, v159                       // 00000000465C: D0480030 00033F9F
	v_add3_u32 v38, v159, v41, 1                               // 000000004664: D1FF0026 0206539F
	v_cndmask_b32_e64 v43, v38, v40, s[48:49]                  // 00000000466C: D100002B 00C25126
	v_perm_b32 v151, v43, v42, s52                             // 000000004674: D1ED0097 00D2552B
	v_cmp_u_f32_e64 s[48:49], v160, v160                       // 00000000467C: D0480030 000341A0
	v_add3_u32 v38, v160, v41, 1                               // 000000004684: D1FF0026 020653A0
	v_cndmask_b32_e64 v42, v38, v40, s[48:49]                  // 00000000468C: D100002A 00C25126
	v_cmp_u_f32_e64 s[48:49], v161, v161                       // 000000004694: D0480030 000343A1
	v_add3_u32 v38, v161, v41, 1                               // 00000000469C: D1FF0026 020653A1
	v_cndmask_b32_e64 v43, v38, v40, s[48:49]                  // 0000000046A4: D100002B 00C25126
	v_perm_b32 v152, v43, v42, s52                             // 0000000046AC: D1ED0098 00D2552B
	v_cmp_u_f32_e64 s[48:49], v162, v162                       // 0000000046B4: D0480030 000345A2
	v_add3_u32 v38, v162, v41, 1                               // 0000000046BC: D1FF0026 020653A2
	v_cndmask_b32_e64 v42, v38, v40, s[48:49]                  // 0000000046C4: D100002A 00C25126
	v_cmp_u_f32_e64 s[48:49], v163, v163                       // 0000000046CC: D0480030 000347A3
	v_add3_u32 v38, v163, v41, 1                               // 0000000046D4: D1FF0026 020653A3
	v_cndmask_b32_e64 v43, v38, v40, s[48:49]                  // 0000000046DC: D100002B 00C25126
	v_perm_b32 v153, v43, v42, s52                             // 0000000046E4: D1ED0099 00D2552B
	v_cmp_u_f32_e64 s[48:49], v164, v164                       // 0000000046EC: D0480030 000349A4
	v_add3_u32 v38, v164, v41, 1                               // 0000000046F4: D1FF0026 020653A4
	v_cndmask_b32_e64 v42, v38, v40, s[48:49]                  // 0000000046FC: D100002A 00C25126
	v_cmp_u_f32_e64 s[48:49], v165, v165                       // 000000004704: D0480030 00034BA5
	v_add3_u32 v38, v165, v41, 1                               // 00000000470C: D1FF0026 020653A5
	v_cndmask_b32_e64 v43, v38, v40, s[48:49]                  // 000000004714: D100002B 00C25126
	v_perm_b32 v154, v43, v42, s52                             // 00000000471C: D1ED009A 00D2552B
	v_cmp_u_f32_e64 s[48:49], v166, v166                       // 000000004724: D0480030 00034DA6
	v_add3_u32 v38, v166, v41, 1                               // 00000000472C: D1FF0026 020653A6
	v_cndmask_b32_e64 v42, v38, v40, s[48:49]                  // 000000004734: D100002A 00C25126
	v_cmp_u_f32_e64 s[48:49], v167, v167                       // 00000000473C: D0480030 00034FA7
	v_add3_u32 v38, v167, v41, 1                               // 000000004744: D1FF0026 020653A7
	v_cndmask_b32_e64 v43, v38, v40, s[48:49]                  // 00000000474C: D100002B 00C25126
	v_perm_b32 v155, v43, v42, s52                             // 000000004754: D1ED009B 00D2552B
	v_cmp_u_f32_e64 s[48:49], v168, v168                       // 00000000475C: D0480030 000351A8
	v_add3_u32 v38, v168, v41, 1                               // 000000004764: D1FF0026 020653A8
	v_cndmask_b32_e64 v42, v38, v40, s[48:49]                  // 00000000476C: D100002A 00C25126
	v_cmp_u_f32_e64 s[48:49], v169, v169                       // 000000004774: D0480030 000353A9
	v_add3_u32 v38, v169, v41, 1                               // 00000000477C: D1FF0026 020653A9
	v_cndmask_b32_e64 v43, v38, v40, s[48:49]                  // 000000004784: D100002B 00C25126
	v_perm_b32 v156, v43, v42, s52                             // 00000000478C: D1ED009C 00D2552B
	v_cmp_u_f32_e64 s[48:49], v170, v170                       // 000000004794: D0480030 000355AA
	v_add3_u32 v38, v170, v41, 1                               // 00000000479C: D1FF0026 020653AA
	v_cndmask_b32_e64 v42, v38, v40, s[48:49]                  // 0000000047A4: D100002A 00C25126
	v_cmp_u_f32_e64 s[48:49], v171, v171                       // 0000000047AC: D0480030 000357AB
	v_add3_u32 v38, v171, v41, 1                               // 0000000047B4: D1FF0026 020653AB
	v_cndmask_b32_e64 v43, v38, v40, s[48:49]                  // 0000000047BC: D100002B 00C25126
	v_perm_b32 v157, v43, v42, s52                             // 0000000047C4: D1ED009D 00D2552B
	v_cmp_u_f32_e64 s[48:49], v172, v172                       // 0000000047CC: D0480030 000359AC
	v_add3_u32 v38, v172, v41, 1                               // 0000000047D4: D1FF0026 020653AC
	v_cndmask_b32_e64 v42, v38, v40, s[48:49]                  // 0000000047DC: D100002A 00C25126
	v_cmp_u_f32_e64 s[48:49], v173, v173                       // 0000000047E4: D0480030 00035BAD
	v_add3_u32 v38, v173, v41, 1                               // 0000000047EC: D1FF0026 020653AD
	v_cndmask_b32_e64 v43, v38, v40, s[48:49]                  // 0000000047F4: D100002B 00C25126
	v_perm_b32 v158, v43, v42, s52                             // 0000000047FC: D1ED009E 00D2552B
	v_cmp_u_f32_e64 s[48:49], v174, v174                       // 000000004804: D0480030 00035DAE
	v_add3_u32 v38, v174, v41, 1                               // 00000000480C: D1FF0026 020653AE
	v_cndmask_b32_e64 v42, v38, v40, s[48:49]                  // 000000004814: D100002A 00C25126
	v_cmp_u_f32_e64 s[48:49], v175, v175                       // 00000000481C: D0480030 00035FAF
	v_add3_u32 v38, v175, v41, 1                               // 000000004824: D1FF0026 020653AF
	v_cndmask_b32_e64 v43, v38, v40, s[48:49]                  // 00000000482C: D100002B 00C25126
	v_perm_b32 v159, v43, v42, s52                             // 000000004834: D1ED009F 00D2552B
	ds_write_b64 v3, v[144:145] offset:22784                   // 00000000483C: D89A5900 00009003
	ds_write_b64 v3, v[146:147] offset:31488                   // 000000004844: D89A7B00 00009203
	ds_write_b64 v3, v[148:149] offset:24960                   // 00000000484C: D89A6180 00009403
	ds_write_b64 v3, v[150:151] offset:33664                   // 000000004854: D89A8380 00009603
	ds_write_b64 v3, v[152:153] offset:27136                   // 00000000485C: D89A6A00 00009803
	ds_write_b64 v3, v[154:155] offset:35840                   // 000000004864: D89A8C00 00009A03
	ds_write_b64 v3, v[156:157] offset:29312                   // 00000000486C: D89A7280 00009C03
	ds_write_b64 v3, v[158:159] offset:38016                   // 000000004874: D89A9480 00009E03
	s_waitcnt lgkmcnt(0)                                       // 00000000487C: BF8CC07F
	s_barrier                                                  // 000000004880: BF8A0000
	ds_read_b32 v64, v4 offset:22784                           // 000000004884: D86C5900 40000004
	ds_read_b32 v65, v4 offset:27136                           // 00000000488C: D86C6A00 41000004
	ds_read_b32 v66, v4 offset:22816                           // 000000004894: D86C5920 42000004
	ds_read_b32 v67, v4 offset:27168                           // 00000000489C: D86C6A20 43000004
	ds_read_b32 v68, v4 offset:22848                           // 0000000048A4: D86C5940 44000004
	ds_read_b32 v69, v4 offset:27200                           // 0000000048AC: D86C6A40 45000004
	ds_read_b32 v70, v4 offset:22880                           // 0000000048B4: D86C5960 46000004
	ds_read_b32 v71, v4 offset:27232                           // 0000000048BC: D86C6A60 47000004
	ds_read_b32 v72, v4 offset:31488                           // 0000000048C4: D86C7B00 48000004
	ds_read_b32 v73, v4 offset:35840                           // 0000000048CC: D86C8C00 49000004
	ds_read_b32 v74, v4 offset:31520                           // 0000000048D4: D86C7B20 4A000004
	ds_read_b32 v75, v4 offset:35872                           // 0000000048DC: D86C8C20 4B000004
	ds_read_b32 v76, v4 offset:31552                           // 0000000048E4: D86C7B40 4C000004
	ds_read_b32 v77, v4 offset:35904                           // 0000000048EC: D86C8C40 4D000004
	ds_read_b32 v78, v4 offset:31584                           // 0000000048F4: D86C7B60 4E000004
	ds_read_b32 v79, v4 offset:35936                           // 0000000048FC: D86C8C60 4F000004
	s_waitcnt lgkmcnt(0)                                       // 000000004904: BF8CC07F
	s_mov_b64 exec, s[20:21]                                   // 000000004908: BEFE0114
	global_atomic_pk_add_bf16 v80, v64, s[8:9]                 // 00000000490C: DD488000 00084050
	s_mov_b64 exec, s[36:37]                                   // 000000004914: BEFE0124
	s_mov_b64 exec, s[20:21]                                   // 000000004918: BEFE0114
	global_atomic_pk_add_bf16 v80, v65, s[8:9] offset:256      // 00000000491C: DD488100 00084150
	s_mov_b64 exec, s[36:37]                                   // 000000004924: BEFE0124
	s_mov_b64 exec, s[22:23]                                   // 000000004928: BEFE0116
	global_atomic_pk_add_bf16 v82, v66, s[8:9]                 // 00000000492C: DD488000 00084252
	s_mov_b64 exec, s[36:37]                                   // 000000004934: BEFE0124
	s_mov_b64 exec, s[22:23]                                   // 000000004938: BEFE0116
	global_atomic_pk_add_bf16 v82, v67, s[8:9] offset:256      // 00000000493C: DD488100 00084352
	s_mov_b64 exec, s[36:37]                                   // 000000004944: BEFE0124
	s_mov_b64 exec, s[24:25]                                   // 000000004948: BEFE0118
	global_atomic_pk_add_bf16 v84, v68, s[8:9]                 // 00000000494C: DD488000 00084454
	s_mov_b64 exec, s[36:37]                                   // 000000004954: BEFE0124
	s_mov_b64 exec, s[24:25]                                   // 000000004958: BEFE0118
	global_atomic_pk_add_bf16 v84, v69, s[8:9] offset:256      // 00000000495C: DD488100 00084554
	s_mov_b64 exec, s[36:37]                                   // 000000004964: BEFE0124
	s_mov_b64 exec, s[26:27]                                   // 000000004968: BEFE011A
	global_atomic_pk_add_bf16 v86, v70, s[8:9]                 // 00000000496C: DD488000 00084656
	s_mov_b64 exec, s[36:37]                                   // 000000004974: BEFE0124
	s_mov_b64 exec, s[26:27]                                   // 000000004978: BEFE011A
	global_atomic_pk_add_bf16 v86, v71, s[8:9] offset:256      // 00000000497C: DD488100 00084756
	s_mov_b64 exec, s[36:37]                                   // 000000004984: BEFE0124
	s_mov_b64 exec, s[28:29]                                   // 000000004988: BEFE011C
	global_atomic_pk_add_bf16 v88, v72, s[8:9]                 // 00000000498C: DD488000 00084858
	s_mov_b64 exec, s[36:37]                                   // 000000004994: BEFE0124
	s_mov_b64 exec, s[28:29]                                   // 000000004998: BEFE011C
	global_atomic_pk_add_bf16 v88, v73, s[8:9] offset:256      // 00000000499C: DD488100 00084958
	s_mov_b64 exec, s[36:37]                                   // 0000000049A4: BEFE0124
	s_mov_b64 exec, s[30:31]                                   // 0000000049A8: BEFE011E
	global_atomic_pk_add_bf16 v90, v74, s[8:9]                 // 0000000049AC: DD488000 00084A5A
	s_mov_b64 exec, s[36:37]                                   // 0000000049B4: BEFE0124
	s_mov_b64 exec, s[30:31]                                   // 0000000049B8: BEFE011E
	global_atomic_pk_add_bf16 v90, v75, s[8:9] offset:256      // 0000000049BC: DD488100 00084B5A
	s_mov_b64 exec, s[36:37]                                   // 0000000049C4: BEFE0124
	s_mov_b64 exec, s[32:33]                                   // 0000000049C8: BEFE0120
	global_atomic_pk_add_bf16 v92, v76, s[8:9]                 // 0000000049CC: DD488000 00084C5C
	s_mov_b64 exec, s[36:37]                                   // 0000000049D4: BEFE0124
	s_mov_b64 exec, s[32:33]                                   // 0000000049D8: BEFE0120
	global_atomic_pk_add_bf16 v92, v77, s[8:9] offset:256      // 0000000049DC: DD488100 00084D5C
	s_mov_b64 exec, s[36:37]                                   // 0000000049E4: BEFE0124
	s_mov_b64 exec, s[34:35]                                   // 0000000049E8: BEFE0122
	global_atomic_pk_add_bf16 v94, v78, s[8:9]                 // 0000000049EC: DD488000 00084E5E
	s_mov_b64 exec, s[36:37]                                   // 0000000049F4: BEFE0124
	s_mov_b64 exec, s[34:35]                                   // 0000000049F8: BEFE0122
	global_atomic_pk_add_bf16 v94, v79, s[8:9] offset:256      // 0000000049FC: DD488100 00084F5E
	s_mov_b64 exec, s[36:37]                                   // 000000004A04: BEFE0124
	s_add_u32 s8, s59, s8                                      // 000000004A08: 8008083B
	s_addc_u32 s9, 0, s9                                       // 000000004A0C: 82090980
	s_addk_i32 s80, 0x100                                      // 000000004A10: B7500100
	s_cmp_lt_i32 s80, s81                                      // 000000004A14: BF045150
	s_cbranch_scc0 label_0A21                                  // 000000004A18: BF84025A
	s_waitcnt vmcnt(21)                                        // 000000004A1C: BF8C4F75
	s_barrier                                                  // 000000004A20: BF8A0000
	v_mfma_i32_16x16x32_i8 v[176:179], a[32:33], v[128:129], 0 // 000000004A24: D3D700B0 0A030120
	v_mfma_i32_16x16x32_i8 v[176:179], a[34:35], v[130:131], v[176:179]// 000000004A2C: D3D700B0 0EC30522
	buffer_load_dwordx4 a[0:3], v34, s[12:15], 0 offen         // 000000004A34: E05C1000 80830022
	v_mfma_i32_16x16x32_i8 v[180:183], a[32:33], v[136:137], 0 // 000000004A3C: D3D700B4 0A031120
	v_mfma_i32_16x16x32_i8 v[180:183], a[34:35], v[138:139], v[180:183]// 000000004A44: D3D700B4 0ED31522
	v_mfma_i32_16x16x32_i8 v[184:187], a[36:37], v[128:129], 0 // 000000004A4C: D3D700B8 0A030124
	v_mfma_i32_16x16x32_i8 v[184:187], a[38:39], v[130:131], v[184:187]// 000000004A54: D3D700B8 0EE30526
	buffer_load_dwordx4 a[4:7], v35, s[12:15], 0 offen         // 000000004A5C: E05C1000 80830423
	v_mfma_i32_16x16x32_i8 v[188:191], a[36:37], v[136:137], 0 // 000000004A64: D3D700BC 0A031124
	v_mfma_i32_16x16x32_i8 v[188:191], a[38:39], v[138:139], v[188:191]// 000000004A6C: D3D700BC 0EF31526
	v_mfma_i32_16x16x32_i8 v[192:195], a[40:41], v[128:129], 0 // 000000004A74: D3D700C0 0A030128
	v_mfma_i32_16x16x32_i8 v[192:195], a[42:43], v[130:131], v[192:195]// 000000004A7C: D3D700C0 0F03052A
	buffer_load_dwordx4 a[8:11], v36, s[12:15], 0 offen        // 000000004A84: E05C1000 80830824
	v_mfma_i32_16x16x32_i8 v[196:199], a[40:41], v[136:137], 0 // 000000004A8C: D3D700C4 0A031128
	v_mfma_i32_16x16x32_i8 v[196:199], a[42:43], v[138:139], v[196:199]// 000000004A94: D3D700C4 0F13152A
	v_mfma_i32_16x16x32_i8 v[200:203], a[44:45], v[128:129], 0 // 000000004A9C: D3D700C8 0A03012C
	v_mfma_i32_16x16x32_i8 v[200:203], a[46:47], v[130:131], v[200:203]// 000000004AA4: D3D700C8 0F23052E
	buffer_load_dwordx4 a[12:15], v37, s[12:15], 0 offen       // 000000004AAC: E05C1000 80830C25
	s_add_u32 s12, s78, s12                                    // 000000004AB4: 800C0C4E
	s_addc_u32 s13, 0, s13                                     // 000000004AB8: 820D0D80
	v_mfma_i32_16x16x32_i8 v[204:207], a[44:45], v[136:137], 0 // 000000004ABC: D3D700CC 0A03112C
	v_mfma_i32_16x16x32_i8 v[204:207], a[46:47], v[138:139], v[204:207]// 000000004AC4: D3D700CC 0F33152E
	s_waitcnt vmcnt(20)                                        // 000000004ACC: BF8C4F74
	v_mfma_i32_16x16x32_i8 v[176:179], a[48:49], v[132:133], v[176:179]// 000000004AD0: D3D700B0 0EC30930
	v_mfma_i32_16x16x32_i8 v[176:179], a[50:51], v[134:135], v[176:179]// 000000004AD8: D3D700B0 0EC30D32
	buffer_load_dwordx4 a[16:19], v34, s[12:15], 0 offen       // 000000004AE0: E05C1000 80831022
	v_mfma_i32_16x16x32_i8 v[180:183], a[48:49], v[140:141], v[180:183]// 000000004AE8: D3D700B4 0ED31930
	v_mfma_i32_16x16x32_i8 v[180:183], a[50:51], v[142:143], v[180:183]// 000000004AF0: D3D700B4 0ED31D32
	buffer_load_dword v11, v5, s[16:19], 0 offen               // 000000004AF8: E0501000 80040B05
	v_mfma_i32_16x16x32_i8 v[184:187], a[52:53], v[132:133], v[184:187]// 000000004B00: D3D700B8 0EE30934
	v_mfma_i32_16x16x32_i8 v[184:187], a[54:55], v[134:135], v[184:187]// 000000004B08: D3D700B8 0EE30D36
	buffer_load_dwordx4 a[20:23], v35, s[12:15], 0 offen       // 000000004B10: E05C1000 80831423
	v_mfma_i32_16x16x32_i8 v[188:191], a[52:53], v[140:141], v[188:191]// 000000004B18: D3D700BC 0EF31934
	v_mfma_i32_16x16x32_i8 v[188:191], a[54:55], v[142:143], v[188:191]// 000000004B20: D3D700BC 0EF31D36
	v_mfma_i32_16x16x32_i8 v[192:195], a[56:57], v[132:133], v[192:195]// 000000004B28: D3D700C0 0F030938
	v_mfma_i32_16x16x32_i8 v[192:195], a[58:59], v[134:135], v[192:195]// 000000004B30: D3D700C0 0F030D3A
	buffer_load_dwordx4 a[24:27], v36, s[12:15], 0 offen       // 000000004B38: E05C1000 80831824
	v_mfma_i32_16x16x32_i8 v[196:199], a[56:57], v[140:141], v[196:199]// 000000004B40: D3D700C4 0F131938
	v_mfma_i32_16x16x32_i8 v[196:199], a[58:59], v[142:143], v[196:199]// 000000004B48: D3D700C4 0F131D3A
	v_mfma_i32_16x16x32_i8 v[200:203], a[60:61], v[132:133], v[200:203]// 000000004B50: D3D700C8 0F23093C
	v_mfma_i32_16x16x32_i8 v[200:203], a[62:63], v[134:135], v[200:203]// 000000004B58: D3D700C8 0F230D3E
	buffer_load_dwordx4 a[28:31], v37, s[12:15], 0 offen       // 000000004B60: E05C1000 80831C25
	v_mfma_i32_16x16x32_i8 v[204:207], a[60:61], v[140:141], v[204:207]// 000000004B68: D3D700CC 0F33193C
	v_mfma_i32_16x16x32_i8 v[204:207], a[62:63], v[142:143], v[204:207]// 000000004B70: D3D700CC 0F331D3E
	s_add_u32 s60, 0x200, s80                                  // 000000004B78: 803C50FF 00000200
	s_cmp_lt_u32 s60, s81                                      // 000000004B80: BF0A513C
	s_cselect_b32 s56, s56, 0                                  // 000000004B84: 85388038
	s_cselect_b32 s78, s78, 0                                  // 000000004B88: 854E804E
	s_cselect_b32 s79, s79, 0                                  // 000000004B8C: 854F804F
	s_add_u32 s12, s56, s12                                    // 000000004B90: 800C0C38
	s_addc_u32 s13, 0, s13                                     // 000000004B94: 820D0D80
	s_add_u32 s16, s79, s16                                    // 000000004B98: 8010104F
	s_addc_u32 s17, 0, s17                                     // 000000004B9C: 82111180
	v_cvt_f32_i32_e32 v176, v176                               // 000000004BA0: 7F600BB0
	v_cvt_f32_i32_e32 v177, v177                               // 000000004BA4: 7F620BB1
	v_cvt_f32_i32_e32 v178, v178                               // 000000004BA8: 7F640BB2
	v_cvt_f32_i32_e32 v179, v179                               // 000000004BAC: 7F660BB3
	v_mul_f32_e32 v176, v22, v176                              // 000000004BB0: 0B616116
	v_mul_f32_e32 v177, v22, v177                              // 000000004BB4: 0B636316
	v_mul_f32_e32 v178, v22, v178                              // 000000004BB8: 0B656516
	v_mul_f32_e32 v179, v22, v179                              // 000000004BBC: 0B676716
	v_mul_f32_dpp v176, v12, v176 row_newbcast:0 row_mask:0xf bank_mask:0xf// 000000004BC0: 0B6160FA FF01500C
	v_mul_f32_dpp v177, v12, v177 row_newbcast:1 row_mask:0xf bank_mask:0xf// 000000004BC8: 0B6362FA FF01510C
	v_mul_f32_dpp v178, v12, v178 row_newbcast:2 row_mask:0xf bank_mask:0xf// 000000004BD0: 0B6564FA FF01520C
	v_mul_f32_dpp v179, v12, v179 row_newbcast:3 row_mask:0xf bank_mask:0xf// 000000004BD8: 0B6766FA FF01530C
	v_mul_f32_e32 v176, v17, v176                              // 000000004BE0: 0B616111
	v_mul_f32_e32 v177, v17, v177                              // 000000004BE4: 0B636311
	v_mul_f32_e32 v178, v17, v178                              // 000000004BE8: 0B656511
	v_mul_f32_e32 v179, v17, v179                              // 000000004BEC: 0B676711
	v_cvt_f32_i32_e32 v180, v180                               // 000000004BF0: 7F680BB4
	v_cvt_f32_i32_e32 v181, v181                               // 000000004BF4: 7F6A0BB5
	v_cvt_f32_i32_e32 v182, v182                               // 000000004BF8: 7F6C0BB6
	v_cvt_f32_i32_e32 v183, v183                               // 000000004BFC: 7F6E0BB7
	v_mul_f32_e32 v180, v23, v180                              // 000000004C00: 0B696917
	v_mul_f32_e32 v181, v23, v181                              // 000000004C04: 0B6B6B17
	v_mul_f32_e32 v182, v23, v182                              // 000000004C08: 0B6D6D17
	v_mul_f32_e32 v183, v23, v183                              // 000000004C0C: 0B6F6F17
	v_mul_f32_dpp v180, v12, v180 row_newbcast:0 row_mask:0xf bank_mask:0xf// 000000004C10: 0B6968FA FF01500C
	v_mul_f32_dpp v181, v12, v181 row_newbcast:1 row_mask:0xf bank_mask:0xf// 000000004C18: 0B6B6AFA FF01510C
	v_mul_f32_dpp v182, v12, v182 row_newbcast:2 row_mask:0xf bank_mask:0xf// 000000004C20: 0B6D6CFA FF01520C
	v_mul_f32_dpp v183, v12, v183 row_newbcast:3 row_mask:0xf bank_mask:0xf// 000000004C28: 0B6F6EFA FF01530C
	v_mul_f32_e32 v180, v18, v180                              // 000000004C30: 0B696912
	v_mul_f32_e32 v181, v18, v181                              // 000000004C34: 0B6B6B12
	v_mul_f32_e32 v182, v18, v182                              // 000000004C38: 0B6D6D12
	v_mul_f32_e32 v183, v18, v183                              // 000000004C3C: 0B6F6F12
	v_cvt_f32_i32_e32 v184, v184                               // 000000004C40: 7F700BB8
	v_cvt_f32_i32_e32 v185, v185                               // 000000004C44: 7F720BB9
	v_cvt_f32_i32_e32 v186, v186                               // 000000004C48: 7F740BBA
	v_cvt_f32_i32_e32 v187, v187                               // 000000004C4C: 7F760BBB
	v_mul_f32_e32 v184, v22, v184                              // 000000004C50: 0B717116
	v_mul_f32_e32 v185, v22, v185                              // 000000004C54: 0B737316
	v_mul_f32_e32 v186, v22, v186                              // 000000004C58: 0B757516
	v_mul_f32_e32 v187, v22, v187                              // 000000004C5C: 0B777716
	v_mul_f32_dpp v184, v12, v184 row_newbcast:4 row_mask:0xf bank_mask:0xf// 000000004C60: 0B7170FA FF01540C
	v_mul_f32_dpp v185, v12, v185 row_newbcast:5 row_mask:0xf bank_mask:0xf// 000000004C68: 0B7372FA FF01550C
	v_mul_f32_dpp v186, v12, v186 row_newbcast:6 row_mask:0xf bank_mask:0xf// 000000004C70: 0B7574FA FF01560C
	v_mul_f32_dpp v187, v12, v187 row_newbcast:7 row_mask:0xf bank_mask:0xf// 000000004C78: 0B7776FA FF01570C
	v_mul_f32_e32 v184, v17, v184                              // 000000004C80: 0B717111
	v_mul_f32_e32 v185, v17, v185                              // 000000004C84: 0B737311
	v_mul_f32_e32 v186, v17, v186                              // 000000004C88: 0B757511
	v_mul_f32_e32 v187, v17, v187                              // 000000004C8C: 0B777711
	v_cvt_f32_i32_e32 v188, v188                               // 000000004C90: 7F780BBC
	v_cvt_f32_i32_e32 v189, v189                               // 000000004C94: 7F7A0BBD
	v_cvt_f32_i32_e32 v190, v190                               // 000000004C98: 7F7C0BBE
	v_cvt_f32_i32_e32 v191, v191                               // 000000004C9C: 7F7E0BBF
	v_mul_f32_e32 v188, v23, v188                              // 000000004CA0: 0B797917
	v_mul_f32_e32 v189, v23, v189                              // 000000004CA4: 0B7B7B17
	v_mul_f32_e32 v190, v23, v190                              // 000000004CA8: 0B7D7D17
	v_mul_f32_e32 v191, v23, v191                              // 000000004CAC: 0B7F7F17
	v_mul_f32_dpp v188, v12, v188 row_newbcast:4 row_mask:0xf bank_mask:0xf// 000000004CB0: 0B7978FA FF01540C
	v_mul_f32_dpp v189, v12, v189 row_newbcast:5 row_mask:0xf bank_mask:0xf// 000000004CB8: 0B7B7AFA FF01550C
	v_mul_f32_dpp v190, v12, v190 row_newbcast:6 row_mask:0xf bank_mask:0xf// 000000004CC0: 0B7D7CFA FF01560C
	v_mul_f32_dpp v191, v12, v191 row_newbcast:7 row_mask:0xf bank_mask:0xf// 000000004CC8: 0B7F7EFA FF01570C
	v_mul_f32_e32 v188, v18, v188                              // 000000004CD0: 0B797912
	v_mul_f32_e32 v189, v18, v189                              // 000000004CD4: 0B7B7B12
	v_mul_f32_e32 v190, v18, v190                              // 000000004CD8: 0B7D7D12
	v_mul_f32_e32 v191, v18, v191                              // 000000004CDC: 0B7F7F12
	v_cvt_f32_i32_e32 v192, v192                               // 000000004CE0: 7F800BC0
	v_cvt_f32_i32_e32 v193, v193                               // 000000004CE4: 7F820BC1
	v_cvt_f32_i32_e32 v194, v194                               // 000000004CE8: 7F840BC2
	v_cvt_f32_i32_e32 v195, v195                               // 000000004CEC: 7F860BC3
	v_mul_f32_e32 v192, v22, v192                              // 000000004CF0: 0B818116
	v_mul_f32_e32 v193, v22, v193                              // 000000004CF4: 0B838316
	v_mul_f32_e32 v194, v22, v194                              // 000000004CF8: 0B858516
	v_mul_f32_e32 v195, v22, v195                              // 000000004CFC: 0B878716
	v_mul_f32_dpp v192, v12, v192 row_newbcast:8 row_mask:0xf bank_mask:0xf// 000000004D00: 0B8180FA FF01580C
	v_mul_f32_dpp v193, v12, v193 row_newbcast:9 row_mask:0xf bank_mask:0xf// 000000004D08: 0B8382FA FF01590C
	v_mul_f32_dpp v194, v12, v194 row_newbcast:10 row_mask:0xf bank_mask:0xf// 000000004D10: 0B8584FA FF015A0C
	v_mul_f32_dpp v195, v12, v195 row_newbcast:11 row_mask:0xf bank_mask:0xf// 000000004D18: 0B8786FA FF015B0C
	v_mul_f32_e32 v192, v17, v192                              // 000000004D20: 0B818111
	v_mul_f32_e32 v193, v17, v193                              // 000000004D24: 0B838311
	v_mul_f32_e32 v194, v17, v194                              // 000000004D28: 0B858511
	v_mul_f32_e32 v195, v17, v195                              // 000000004D2C: 0B878711
	v_cvt_f32_i32_e32 v196, v196                               // 000000004D30: 7F880BC4
	v_cvt_f32_i32_e32 v197, v197                               // 000000004D34: 7F8A0BC5
	v_cvt_f32_i32_e32 v198, v198                               // 000000004D38: 7F8C0BC6
	v_cvt_f32_i32_e32 v199, v199                               // 000000004D3C: 7F8E0BC7
	v_mul_f32_e32 v196, v23, v196                              // 000000004D40: 0B898917
	v_mul_f32_e32 v197, v23, v197                              // 000000004D44: 0B8B8B17
	v_mul_f32_e32 v198, v23, v198                              // 000000004D48: 0B8D8D17
	v_mul_f32_e32 v199, v23, v199                              // 000000004D4C: 0B8F8F17
	v_mul_f32_dpp v196, v12, v196 row_newbcast:8 row_mask:0xf bank_mask:0xf// 000000004D50: 0B8988FA FF01580C
	v_mul_f32_dpp v197, v12, v197 row_newbcast:9 row_mask:0xf bank_mask:0xf// 000000004D58: 0B8B8AFA FF01590C
	v_mul_f32_dpp v198, v12, v198 row_newbcast:10 row_mask:0xf bank_mask:0xf// 000000004D60: 0B8D8CFA FF015A0C
	v_mul_f32_dpp v199, v12, v199 row_newbcast:11 row_mask:0xf bank_mask:0xf// 000000004D68: 0B8F8EFA FF015B0C
	v_mul_f32_e32 v196, v18, v196                              // 000000004D70: 0B898912
	v_mul_f32_e32 v197, v18, v197                              // 000000004D74: 0B8B8B12
	v_mul_f32_e32 v198, v18, v198                              // 000000004D78: 0B8D8D12
	v_mul_f32_e32 v199, v18, v199                              // 000000004D7C: 0B8F8F12
	v_cvt_f32_i32_e32 v200, v200                               // 000000004D80: 7F900BC8
	v_cvt_f32_i32_e32 v201, v201                               // 000000004D84: 7F920BC9
	v_cvt_f32_i32_e32 v202, v202                               // 000000004D88: 7F940BCA
	v_cvt_f32_i32_e32 v203, v203                               // 000000004D8C: 7F960BCB
	v_mul_f32_e32 v200, v22, v200                              // 000000004D90: 0B919116
	v_mul_f32_e32 v201, v22, v201                              // 000000004D94: 0B939316
	v_mul_f32_e32 v202, v22, v202                              // 000000004D98: 0B959516
	v_mul_f32_e32 v203, v22, v203                              // 000000004D9C: 0B979716
	v_mul_f32_dpp v200, v12, v200 row_newbcast:12 row_mask:0xf bank_mask:0xf// 000000004DA0: 0B9190FA FF015C0C
	v_mul_f32_dpp v201, v12, v201 row_newbcast:13 row_mask:0xf bank_mask:0xf// 000000004DA8: 0B9392FA FF015D0C
	v_mul_f32_dpp v202, v12, v202 row_newbcast:14 row_mask:0xf bank_mask:0xf// 000000004DB0: 0B9594FA FF015E0C
	v_mul_f32_dpp v203, v12, v203 row_newbcast:15 row_mask:0xf bank_mask:0xf// 000000004DB8: 0B9796FA FF015F0C
	v_mul_f32_e32 v200, v17, v200                              // 000000004DC0: 0B919111
	v_mul_f32_e32 v201, v17, v201                              // 000000004DC4: 0B939311
	v_mul_f32_e32 v202, v17, v202                              // 000000004DC8: 0B959511
	v_mul_f32_e32 v203, v17, v203                              // 000000004DCC: 0B979711
	v_cvt_f32_i32_e32 v204, v204                               // 000000004DD0: 7F980BCC
	v_cvt_f32_i32_e32 v205, v205                               // 000000004DD4: 7F9A0BCD
	v_cvt_f32_i32_e32 v206, v206                               // 000000004DD8: 7F9C0BCE
	v_cvt_f32_i32_e32 v207, v207                               // 000000004DDC: 7F9E0BCF
	v_mul_f32_e32 v204, v23, v204                              // 000000004DE0: 0B999917
	v_mul_f32_e32 v205, v23, v205                              // 000000004DE4: 0B9B9B17
	v_mul_f32_e32 v206, v23, v206                              // 000000004DE8: 0B9D9D17
	v_mul_f32_e32 v207, v23, v207                              // 000000004DEC: 0B9F9F17
	v_mul_f32_dpp v204, v12, v204 row_newbcast:12 row_mask:0xf bank_mask:0xf// 000000004DF0: 0B9998FA FF015C0C
	v_mul_f32_dpp v205, v12, v205 row_newbcast:13 row_mask:0xf bank_mask:0xf// 000000004DF8: 0B9B9AFA FF015D0C
	v_mul_f32_dpp v206, v12, v206 row_newbcast:14 row_mask:0xf bank_mask:0xf// 000000004E00: 0B9D9CFA FF015E0C
	v_mul_f32_dpp v207, v12, v207 row_newbcast:15 row_mask:0xf bank_mask:0xf// 000000004E08: 0B9F9EFA FF015F0C
	v_mul_f32_e32 v204, v18, v204                              // 000000004E10: 0B999912
	v_mul_f32_e32 v205, v18, v205                              // 000000004E14: 0B9B9B12
	v_mul_f32_e32 v206, v18, v206                              // 000000004E18: 0B9D9D12
	v_mul_f32_e32 v207, v18, v207                              // 000000004E1C: 0B9F9F12
	v_cmp_u_f32_e64 s[48:49], v176, v176                       // 000000004E20: D0480030 000361B0
	v_add3_u32 v38, v176, v41, 1                               // 000000004E28: D1FF0026 020653B0
	v_cndmask_b32_e64 v42, v38, v40, s[48:49]                  // 000000004E30: D100002A 00C25126
	v_cmp_u_f32_e64 s[48:49], v177, v177                       // 000000004E38: D0480030 000363B1
	v_add3_u32 v38, v177, v41, 1                               // 000000004E40: D1FF0026 020653B1
	v_cndmask_b32_e64 v43, v38, v40, s[48:49]                  // 000000004E48: D100002B 00C25126
	v_perm_b32 v176, v43, v42, s52                             // 000000004E50: D1ED00B0 00D2552B
	v_cmp_u_f32_e64 s[48:49], v178, v178                       // 000000004E58: D0480030 000365B2
	v_add3_u32 v38, v178, v41, 1                               // 000000004E60: D1FF0026 020653B2
	v_cndmask_b32_e64 v42, v38, v40, s[48:49]                  // 000000004E68: D100002A 00C25126
	v_cmp_u_f32_e64 s[48:49], v179, v179                       // 000000004E70: D0480030 000367B3
	v_add3_u32 v38, v179, v41, 1                               // 000000004E78: D1FF0026 020653B3
	v_cndmask_b32_e64 v43, v38, v40, s[48:49]                  // 000000004E80: D100002B 00C25126
	v_perm_b32 v177, v43, v42, s52                             // 000000004E88: D1ED00B1 00D2552B
	v_cmp_u_f32_e64 s[48:49], v180, v180                       // 000000004E90: D0480030 000369B4
	v_add3_u32 v38, v180, v41, 1                               // 000000004E98: D1FF0026 020653B4
	v_cndmask_b32_e64 v42, v38, v40, s[48:49]                  // 000000004EA0: D100002A 00C25126
	v_cmp_u_f32_e64 s[48:49], v181, v181                       // 000000004EA8: D0480030 00036BB5
	v_add3_u32 v38, v181, v41, 1                               // 000000004EB0: D1FF0026 020653B5
	v_cndmask_b32_e64 v43, v38, v40, s[48:49]                  // 000000004EB8: D100002B 00C25126
	v_perm_b32 v178, v43, v42, s52                             // 000000004EC0: D1ED00B2 00D2552B
	v_cmp_u_f32_e64 s[48:49], v182, v182                       // 000000004EC8: D0480030 00036DB6
	v_add3_u32 v38, v182, v41, 1                               // 000000004ED0: D1FF0026 020653B6
	v_cndmask_b32_e64 v42, v38, v40, s[48:49]                  // 000000004ED8: D100002A 00C25126
	v_cmp_u_f32_e64 s[48:49], v183, v183                       // 000000004EE0: D0480030 00036FB7
	v_add3_u32 v38, v183, v41, 1                               // 000000004EE8: D1FF0026 020653B7
	v_cndmask_b32_e64 v43, v38, v40, s[48:49]                  // 000000004EF0: D100002B 00C25126
	v_perm_b32 v179, v43, v42, s52                             // 000000004EF8: D1ED00B3 00D2552B
	v_cmp_u_f32_e64 s[48:49], v184, v184                       // 000000004F00: D0480030 000371B8
	v_add3_u32 v38, v184, v41, 1                               // 000000004F08: D1FF0026 020653B8
	v_cndmask_b32_e64 v42, v38, v40, s[48:49]                  // 000000004F10: D100002A 00C25126
	v_cmp_u_f32_e64 s[48:49], v185, v185                       // 000000004F18: D0480030 000373B9
	v_add3_u32 v38, v185, v41, 1                               // 000000004F20: D1FF0026 020653B9
	v_cndmask_b32_e64 v43, v38, v40, s[48:49]                  // 000000004F28: D100002B 00C25126
	v_perm_b32 v180, v43, v42, s52                             // 000000004F30: D1ED00B4 00D2552B
	v_cmp_u_f32_e64 s[48:49], v186, v186                       // 000000004F38: D0480030 000375BA
	v_add3_u32 v38, v186, v41, 1                               // 000000004F40: D1FF0026 020653BA
	v_cndmask_b32_e64 v42, v38, v40, s[48:49]                  // 000000004F48: D100002A 00C25126
	v_cmp_u_f32_e64 s[48:49], v187, v187                       // 000000004F50: D0480030 000377BB
	v_add3_u32 v38, v187, v41, 1                               // 000000004F58: D1FF0026 020653BB
	v_cndmask_b32_e64 v43, v38, v40, s[48:49]                  // 000000004F60: D100002B 00C25126
	v_perm_b32 v181, v43, v42, s52                             // 000000004F68: D1ED00B5 00D2552B
	v_cmp_u_f32_e64 s[48:49], v188, v188                       // 000000004F70: D0480030 000379BC
	v_add3_u32 v38, v188, v41, 1                               // 000000004F78: D1FF0026 020653BC
	v_cndmask_b32_e64 v42, v38, v40, s[48:49]                  // 000000004F80: D100002A 00C25126
	v_cmp_u_f32_e64 s[48:49], v189, v189                       // 000000004F88: D0480030 00037BBD
	v_add3_u32 v38, v189, v41, 1                               // 000000004F90: D1FF0026 020653BD
	v_cndmask_b32_e64 v43, v38, v40, s[48:49]                  // 000000004F98: D100002B 00C25126
	v_perm_b32 v182, v43, v42, s52                             // 000000004FA0: D1ED00B6 00D2552B
	v_cmp_u_f32_e64 s[48:49], v190, v190                       // 000000004FA8: D0480030 00037DBE
	v_add3_u32 v38, v190, v41, 1                               // 000000004FB0: D1FF0026 020653BE
	v_cndmask_b32_e64 v42, v38, v40, s[48:49]                  // 000000004FB8: D100002A 00C25126
	v_cmp_u_f32_e64 s[48:49], v191, v191                       // 000000004FC0: D0480030 00037FBF
	v_add3_u32 v38, v191, v41, 1                               // 000000004FC8: D1FF0026 020653BF
	v_cndmask_b32_e64 v43, v38, v40, s[48:49]                  // 000000004FD0: D100002B 00C25126
	v_perm_b32 v183, v43, v42, s52                             // 000000004FD8: D1ED00B7 00D2552B
	v_cmp_u_f32_e64 s[48:49], v192, v192                       // 000000004FE0: D0480030 000381C0
	v_add3_u32 v38, v192, v41, 1                               // 000000004FE8: D1FF0026 020653C0
	v_cndmask_b32_e64 v42, v38, v40, s[48:49]                  // 000000004FF0: D100002A 00C25126
	v_cmp_u_f32_e64 s[48:49], v193, v193                       // 000000004FF8: D0480030 000383C1
	v_add3_u32 v38, v193, v41, 1                               // 000000005000: D1FF0026 020653C1
	v_cndmask_b32_e64 v43, v38, v40, s[48:49]                  // 000000005008: D100002B 00C25126
	v_perm_b32 v184, v43, v42, s52                             // 000000005010: D1ED00B8 00D2552B
	v_cmp_u_f32_e64 s[48:49], v194, v194                       // 000000005018: D0480030 000385C2
	v_add3_u32 v38, v194, v41, 1                               // 000000005020: D1FF0026 020653C2
	v_cndmask_b32_e64 v42, v38, v40, s[48:49]                  // 000000005028: D100002A 00C25126
	v_cmp_u_f32_e64 s[48:49], v195, v195                       // 000000005030: D0480030 000387C3
	v_add3_u32 v38, v195, v41, 1                               // 000000005038: D1FF0026 020653C3
	v_cndmask_b32_e64 v43, v38, v40, s[48:49]                  // 000000005040: D100002B 00C25126
	v_perm_b32 v185, v43, v42, s52                             // 000000005048: D1ED00B9 00D2552B
	v_cmp_u_f32_e64 s[48:49], v196, v196                       // 000000005050: D0480030 000389C4
	v_add3_u32 v38, v196, v41, 1                               // 000000005058: D1FF0026 020653C4
	v_cndmask_b32_e64 v42, v38, v40, s[48:49]                  // 000000005060: D100002A 00C25126
	v_cmp_u_f32_e64 s[48:49], v197, v197                       // 000000005068: D0480030 00038BC5
	v_add3_u32 v38, v197, v41, 1                               // 000000005070: D1FF0026 020653C5
	v_cndmask_b32_e64 v43, v38, v40, s[48:49]                  // 000000005078: D100002B 00C25126
	v_perm_b32 v186, v43, v42, s52                             // 000000005080: D1ED00BA 00D2552B
	v_cmp_u_f32_e64 s[48:49], v198, v198                       // 000000005088: D0480030 00038DC6
	v_add3_u32 v38, v198, v41, 1                               // 000000005090: D1FF0026 020653C6
	v_cndmask_b32_e64 v42, v38, v40, s[48:49]                  // 000000005098: D100002A 00C25126
	v_cmp_u_f32_e64 s[48:49], v199, v199                       // 0000000050A0: D0480030 00038FC7
	v_add3_u32 v38, v199, v41, 1                               // 0000000050A8: D1FF0026 020653C7
	v_cndmask_b32_e64 v43, v38, v40, s[48:49]                  // 0000000050B0: D100002B 00C25126
	v_perm_b32 v187, v43, v42, s52                             // 0000000050B8: D1ED00BB 00D2552B
	v_cmp_u_f32_e64 s[48:49], v200, v200                       // 0000000050C0: D0480030 000391C8
	v_add3_u32 v38, v200, v41, 1                               // 0000000050C8: D1FF0026 020653C8
	v_cndmask_b32_e64 v42, v38, v40, s[48:49]                  // 0000000050D0: D100002A 00C25126
	v_cmp_u_f32_e64 s[48:49], v201, v201                       // 0000000050D8: D0480030 000393C9
	v_add3_u32 v38, v201, v41, 1                               // 0000000050E0: D1FF0026 020653C9
	v_cndmask_b32_e64 v43, v38, v40, s[48:49]                  // 0000000050E8: D100002B 00C25126
	v_perm_b32 v188, v43, v42, s52                             // 0000000050F0: D1ED00BC 00D2552B
	v_cmp_u_f32_e64 s[48:49], v202, v202                       // 0000000050F8: D0480030 000395CA
	v_add3_u32 v38, v202, v41, 1                               // 000000005100: D1FF0026 020653CA
	v_cndmask_b32_e64 v42, v38, v40, s[48:49]                  // 000000005108: D100002A 00C25126
	v_cmp_u_f32_e64 s[48:49], v203, v203                       // 000000005110: D0480030 000397CB
	v_add3_u32 v38, v203, v41, 1                               // 000000005118: D1FF0026 020653CB
	v_cndmask_b32_e64 v43, v38, v40, s[48:49]                  // 000000005120: D100002B 00C25126
	v_perm_b32 v189, v43, v42, s52                             // 000000005128: D1ED00BD 00D2552B
	v_cmp_u_f32_e64 s[48:49], v204, v204                       // 000000005130: D0480030 000399CC
	v_add3_u32 v38, v204, v41, 1                               // 000000005138: D1FF0026 020653CC
	v_cndmask_b32_e64 v42, v38, v40, s[48:49]                  // 000000005140: D100002A 00C25126
	v_cmp_u_f32_e64 s[48:49], v205, v205                       // 000000005148: D0480030 00039BCD
	v_add3_u32 v38, v205, v41, 1                               // 000000005150: D1FF0026 020653CD
	v_cndmask_b32_e64 v43, v38, v40, s[48:49]                  // 000000005158: D100002B 00C25126
	v_perm_b32 v190, v43, v42, s52                             // 000000005160: D1ED00BE 00D2552B
	v_cmp_u_f32_e64 s[48:49], v206, v206                       // 000000005168: D0480030 00039DCE
	v_add3_u32 v38, v206, v41, 1                               // 000000005170: D1FF0026 020653CE
	v_cndmask_b32_e64 v42, v38, v40, s[48:49]                  // 000000005178: D100002A 00C25126
	v_cmp_u_f32_e64 s[48:49], v207, v207                       // 000000005180: D0480030 00039FCF
	v_add3_u32 v38, v207, v41, 1                               // 000000005188: D1FF0026 020653CF
	v_cndmask_b32_e64 v43, v38, v40, s[48:49]                  // 000000005190: D100002B 00C25126
	v_perm_b32 v191, v43, v42, s52                             // 000000005198: D1ED00BF 00D2552B
	ds_write_b64 v3, v[176:177] offset:22784                   // 0000000051A0: D89A5900 0000B003
	ds_write_b64 v3, v[178:179] offset:31488                   // 0000000051A8: D89A7B00 0000B203
	ds_write_b64 v3, v[180:181] offset:24960                   // 0000000051B0: D89A6180 0000B403
	ds_write_b64 v3, v[182:183] offset:33664                   // 0000000051B8: D89A8380 0000B603
	ds_write_b64 v3, v[184:185] offset:27136                   // 0000000051C0: D89A6A00 0000B803
	ds_write_b64 v3, v[186:187] offset:35840                   // 0000000051C8: D89A8C00 0000BA03
	ds_write_b64 v3, v[188:189] offset:29312                   // 0000000051D0: D89A7280 0000BC03
	ds_write_b64 v3, v[190:191] offset:38016                   // 0000000051D8: D89A9480 0000BE03
	s_waitcnt lgkmcnt(0)                                       // 0000000051E0: BF8CC07F
	s_barrier                                                  // 0000000051E4: BF8A0000
	ds_read_b32 v64, v4 offset:22784                           // 0000000051E8: D86C5900 40000004
	ds_read_b32 v65, v4 offset:27136                           // 0000000051F0: D86C6A00 41000004
	ds_read_b32 v66, v4 offset:22816                           // 0000000051F8: D86C5920 42000004
	ds_read_b32 v67, v4 offset:27168                           // 000000005200: D86C6A20 43000004
	ds_read_b32 v68, v4 offset:22848                           // 000000005208: D86C5940 44000004
	ds_read_b32 v69, v4 offset:27200                           // 000000005210: D86C6A40 45000004
	ds_read_b32 v70, v4 offset:22880                           // 000000005218: D86C5960 46000004
	ds_read_b32 v71, v4 offset:27232                           // 000000005220: D86C6A60 47000004
	ds_read_b32 v72, v4 offset:31488                           // 000000005228: D86C7B00 48000004
	ds_read_b32 v73, v4 offset:35840                           // 000000005230: D86C8C00 49000004
	ds_read_b32 v74, v4 offset:31520                           // 000000005238: D86C7B20 4A000004
	ds_read_b32 v75, v4 offset:35872                           // 000000005240: D86C8C20 4B000004
	ds_read_b32 v76, v4 offset:31552                           // 000000005248: D86C7B40 4C000004
	ds_read_b32 v77, v4 offset:35904                           // 000000005250: D86C8C40 4D000004
	ds_read_b32 v78, v4 offset:31584                           // 000000005258: D86C7B60 4E000004
	ds_read_b32 v79, v4 offset:35936                           // 000000005260: D86C8C60 4F000004
	s_waitcnt lgkmcnt(0)                                       // 000000005268: BF8CC07F
	s_mov_b64 exec, s[20:21]                                   // 00000000526C: BEFE0114
	global_atomic_pk_add_bf16 v80, v64, s[8:9]                 // 000000005270: DD488000 00084050
	s_mov_b64 exec, s[36:37]                                   // 000000005278: BEFE0124
	s_mov_b64 exec, s[20:21]                                   // 00000000527C: BEFE0114
	global_atomic_pk_add_bf16 v80, v65, s[8:9] offset:256      // 000000005280: DD488100 00084150
	s_mov_b64 exec, s[36:37]                                   // 000000005288: BEFE0124
	s_mov_b64 exec, s[22:23]                                   // 00000000528C: BEFE0116
	global_atomic_pk_add_bf16 v82, v66, s[8:9]                 // 000000005290: DD488000 00084252
	s_mov_b64 exec, s[36:37]                                   // 000000005298: BEFE0124
	s_mov_b64 exec, s[22:23]                                   // 00000000529C: BEFE0116
	global_atomic_pk_add_bf16 v82, v67, s[8:9] offset:256      // 0000000052A0: DD488100 00084352
	s_mov_b64 exec, s[36:37]                                   // 0000000052A8: BEFE0124
	s_mov_b64 exec, s[24:25]                                   // 0000000052AC: BEFE0118
	global_atomic_pk_add_bf16 v84, v68, s[8:9]                 // 0000000052B0: DD488000 00084454
	s_mov_b64 exec, s[36:37]                                   // 0000000052B8: BEFE0124
	s_mov_b64 exec, s[24:25]                                   // 0000000052BC: BEFE0118
	global_atomic_pk_add_bf16 v84, v69, s[8:9] offset:256      // 0000000052C0: DD488100 00084554
	s_mov_b64 exec, s[36:37]                                   // 0000000052C8: BEFE0124
	s_mov_b64 exec, s[26:27]                                   // 0000000052CC: BEFE011A
	global_atomic_pk_add_bf16 v86, v70, s[8:9]                 // 0000000052D0: DD488000 00084656
	s_mov_b64 exec, s[36:37]                                   // 0000000052D8: BEFE0124
	s_mov_b64 exec, s[26:27]                                   // 0000000052DC: BEFE011A
	global_atomic_pk_add_bf16 v86, v71, s[8:9] offset:256      // 0000000052E0: DD488100 00084756
	s_mov_b64 exec, s[36:37]                                   // 0000000052E8: BEFE0124
	s_mov_b64 exec, s[28:29]                                   // 0000000052EC: BEFE011C
	global_atomic_pk_add_bf16 v88, v72, s[8:9]                 // 0000000052F0: DD488000 00084858
	s_mov_b64 exec, s[36:37]                                   // 0000000052F8: BEFE0124
	s_mov_b64 exec, s[28:29]                                   // 0000000052FC: BEFE011C
	global_atomic_pk_add_bf16 v88, v73, s[8:9] offset:256      // 000000005300: DD488100 00084958
	s_mov_b64 exec, s[36:37]                                   // 000000005308: BEFE0124
	s_mov_b64 exec, s[30:31]                                   // 00000000530C: BEFE011E
	global_atomic_pk_add_bf16 v90, v74, s[8:9]                 // 000000005310: DD488000 00084A5A
	s_mov_b64 exec, s[36:37]                                   // 000000005318: BEFE0124
	s_mov_b64 exec, s[30:31]                                   // 00000000531C: BEFE011E
	global_atomic_pk_add_bf16 v90, v75, s[8:9] offset:256      // 000000005320: DD488100 00084B5A
	s_mov_b64 exec, s[36:37]                                   // 000000005328: BEFE0124
	s_mov_b64 exec, s[32:33]                                   // 00000000532C: BEFE0120
	global_atomic_pk_add_bf16 v92, v76, s[8:9]                 // 000000005330: DD488000 00084C5C
	s_mov_b64 exec, s[36:37]                                   // 000000005338: BEFE0124
	s_mov_b64 exec, s[32:33]                                   // 00000000533C: BEFE0120
	global_atomic_pk_add_bf16 v92, v77, s[8:9] offset:256      // 000000005340: DD488100 00084D5C
	s_mov_b64 exec, s[36:37]                                   // 000000005348: BEFE0124
	s_mov_b64 exec, s[34:35]                                   // 00000000534C: BEFE0122
	global_atomic_pk_add_bf16 v94, v78, s[8:9]                 // 000000005350: DD488000 00084E5E
	s_mov_b64 exec, s[36:37]                                   // 000000005358: BEFE0124
	s_mov_b64 exec, s[34:35]                                   // 00000000535C: BEFE0122
	global_atomic_pk_add_bf16 v94, v79, s[8:9] offset:256      // 000000005360: DD488100 00084F5E
	s_mov_b64 exec, s[36:37]                                   // 000000005368: BEFE0124
	s_add_u32 s8, s59, s8                                      // 00000000536C: 8008083B
	s_addc_u32 s9, 0, s9                                       // 000000005370: 82090980
	s_addk_i32 s80, 0x100                                      // 000000005374: B7500100
	s_cmp_lt_i32 s80, s81                                      // 000000005378: BF045150
	s_cbranch_scc0 label_0A21                                  // 00000000537C: BF840001
	s_branch label_056E                                        // 000000005380: BF82FB4D

0000000000005384 <label_0A21>:
	s_nop 0                                                    // 000000005384: BF800000
	s_nop 0                                                    // 000000005388: BF800000
	s_branch label_1203                                        // 00000000538C: BF8207DF

0000000000005390 <label_0A24>:
	s_waitcnt vmcnt(0) lgkmcnt(0)                              // 000000005390: BF8C0070
	s_barrier                                                  // 000000005394: BF8A0000
	v_mfma_i32_16x16x32_i8 v[128:131], a[0:1], v[144:145], v[128:131]// 000000005398: D3D70080 0E032100
	buffer_load_dwordx4 a[32:35], v32, s[24:27], 0 offen       // 0000000053A0: E05C1000 80862020
	v_mfma_i32_16x16x32_i8 v[128:131], a[2:3], v[146:147], v[128:131]// 0000000053A8: D3D70080 0E032502
	v_mfma_i32_16x16x32_i8 v[128:131], a[4:5], v[148:149], v[128:131]// 0000000053B0: D3D70080 0E032904
	buffer_load_dword v24, s[20:23], 0 offen lds               // 0000000053B8: E0511000 80050018
	s_add_u32 m0, 0x100, s50                                   // 0000000053C0: 807C32FF 00000100
	ds_read_b128 v[176:179], v2 offset:8320                    // 0000000053C8: D9FE2080 B0000002
	v_mfma_i32_16x16x32_i8 v[128:131], a[6:7], v[150:151], v[128:131]// 0000000053D0: D3D70080 0E032D06
	v_mfma_i32_16x16x32_i8 v[128:131], a[8:9], v[152:153], v[128:131]// 0000000053D8: D3D70080 0E033108
	buffer_load_dwordx4 a[36:39], v32, s[24:27], 0 offen offset:1024// 0000000053E0: E05C1400 80862420
	v_mfma_i32_16x16x32_i8 v[128:131], a[10:11], v[154:155], v[128:131]// 0000000053E8: D3D70080 0E03350A
	v_mfma_i32_16x16x32_i8 v[128:131], a[12:13], v[156:157], v[128:131]// 0000000053F0: D3D70080 0E03390C
	buffer_load_dword v25, s[20:23], 0 offen lds               // 0000000053F8: E0511000 80050019
	s_add_u32 m0, 0x200, s50                                   // 000000005400: 807C32FF 00000200
	ds_read_b128 v[180:183], v2 offset:8384                    // 000000005408: D9FE20C0 B4000002
	v_mfma_i32_16x16x32_i8 v[128:131], a[14:15], v[158:159], v[128:131]// 000000005410: D3D70080 0E033D0E
	v_mfma_i32_16x16x32_i8 v[132:135], a[0:1], v[160:161], v[132:135]// 000000005418: D3D70084 0E134100
	buffer_load_dwordx4 a[40:43], v32, s[24:27], 0 offen offset:2048// 000000005420: E05C1800 80862820
	v_mfma_i32_16x16x32_i8 v[132:135], a[2:3], v[162:163], v[132:135]// 000000005428: D3D70084 0E134502
	v_mfma_i32_16x16x32_i8 v[132:135], a[4:5], v[164:165], v[132:135]// 000000005430: D3D70084 0E134904
	buffer_load_dword v26, s[20:23], 0 offen lds               // 000000005438: E0511000 8005001A
	s_add_u32 m0, 0x300, s50                                   // 000000005440: 807C32FF 00000300
	ds_read_b128 v[184:187], v2 offset:8448                    // 000000005448: D9FE2100 B8000002
	v_mfma_i32_16x16x32_i8 v[132:135], a[6:7], v[166:167], v[132:135]// 000000005450: D3D70084 0E134D06
	v_mfma_i32_16x16x32_i8 v[132:135], a[8:9], v[168:169], v[132:135]// 000000005458: D3D70084 0E135108
	buffer_load_dwordx4 a[44:47], v32, s[24:27], 0 offen offset:3072// 000000005460: E05C1C00 80862C20
	v_mfma_i32_16x16x32_i8 v[132:135], a[10:11], v[170:171], v[132:135]// 000000005468: D3D70084 0E13550A
	v_mfma_i32_16x16x32_i8 v[132:135], a[12:13], v[172:173], v[132:135]// 000000005470: D3D70084 0E13590C
	buffer_load_dword v27, s[20:23], 0 offen lds               // 000000005478: E0511000 8005001B
	s_add_u32 m0, 0x400, s50                                   // 000000005480: 807C32FF 00000400
	ds_read_b128 v[188:191], v2 offset:8512                    // 000000005488: D9FE2140 BC000002
	v_mfma_i32_16x16x32_i8 v[132:135], a[14:15], v[174:175], v[132:135]// 000000005490: D3D70084 0E135D0E
	v_mfma_i32_16x16x32_i8 v[136:139], a[16:17], v[144:145], v[136:139]// 000000005498: D3D70088 0E232110
	buffer_load_dwordx4 a[48:51], v33, s[24:27], 0 offen       // 0000000054A0: E05C1000 80863021
	v_mfma_i32_16x16x32_i8 v[136:139], a[18:19], v[146:147], v[136:139]// 0000000054A8: D3D70088 0E232512
	v_mfma_i32_16x16x32_i8 v[136:139], a[20:21], v[148:149], v[136:139]// 0000000054B0: D3D70088 0E232914
	buffer_load_dword v28, s[20:23], 0 offen lds               // 0000000054B8: E0511000 8005001C
	s_add_u32 m0, 0x500, s50                                   // 0000000054C0: 807C32FF 00000500
	ds_read_b128 v[192:195], v2 offset:9344                    // 0000000054C8: D9FE2480 C0000002
	v_mfma_i32_16x16x32_i8 v[136:139], a[22:23], v[150:151], v[136:139]// 0000000054D0: D3D70088 0E232D16
	v_mfma_i32_16x16x32_i8 v[136:139], a[24:25], v[152:153], v[136:139]// 0000000054D8: D3D70088 0E233118
	buffer_load_dwordx4 a[52:55], v33, s[24:27], 0 offen offset:1024// 0000000054E0: E05C1400 80863421
	v_mfma_i32_16x16x32_i8 v[136:139], a[26:27], v[154:155], v[136:139]// 0000000054E8: D3D70088 0E23351A
	v_mfma_i32_16x16x32_i8 v[136:139], a[28:29], v[156:157], v[136:139]// 0000000054F0: D3D70088 0E23391C
	buffer_load_dword v29, s[20:23], 0 offen lds               // 0000000054F8: E0511000 8005001D
	s_add_u32 m0, 0x600, s50                                   // 000000005500: 807C32FF 00000600
	ds_read_b128 v[196:199], v2 offset:9408                    // 000000005508: D9FE24C0 C4000002
	v_mfma_i32_16x16x32_i8 v[136:139], a[30:31], v[158:159], v[136:139]// 000000005510: D3D70088 0E233D1E
	v_mfma_i32_16x16x32_i8 v[140:143], a[16:17], v[160:161], v[140:143]// 000000005518: D3D7008C 0E334110
	buffer_load_dwordx4 a[56:59], v33, s[24:27], 0 offen offset:2048// 000000005520: E05C1800 80863821
	v_mfma_i32_16x16x32_i8 v[140:143], a[18:19], v[162:163], v[140:143]// 000000005528: D3D7008C 0E334512
	v_mfma_i32_16x16x32_i8 v[140:143], a[20:21], v[164:165], v[140:143]// 000000005530: D3D7008C 0E334914
	buffer_load_dword v30, s[20:23], 0 offen lds               // 000000005538: E0511000 8005001E
	s_add_u32 m0, 0x700, s50                                   // 000000005540: 807C32FF 00000700
	ds_read_b128 v[200:203], v2 offset:9472                    // 000000005548: D9FE2500 C8000002
	v_mfma_i32_16x16x32_i8 v[140:143], a[22:23], v[166:167], v[140:143]// 000000005550: D3D7008C 0E334D16
	v_mfma_i32_16x16x32_i8 v[140:143], a[24:25], v[168:169], v[140:143]// 000000005558: D3D7008C 0E335118
	buffer_load_dwordx4 a[60:63], v33, s[24:27], 0 offen offset:3072// 000000005560: E05C1C00 80863C21
	v_mfma_i32_16x16x32_i8 v[140:143], a[26:27], v[170:171], v[140:143]// 000000005568: D3D7008C 0E33551A
	v_mfma_i32_16x16x32_i8 v[140:143], a[28:29], v[172:173], v[140:143]// 000000005570: D3D7008C 0E33591C
	buffer_load_dword v31, s[20:23], 0 offen lds               // 000000005578: E0511000 8005001F
	s_add_u32 m0, 0, s51                                       // 000000005580: 807C3380
	ds_read_b128 v[204:207], v2 offset:9536                    // 000000005584: D9FE2540 CC000002
	v_mfma_i32_16x16x32_i8 v[140:143], a[30:31], v[174:175], v[140:143]// 00000000558C: D3D7008C 0E335D1E
	s_add_u32 s60, 0x300, s80                                  // 000000005594: 803C50FF 00000300
	s_cmp_lt_u32 s60, s81                                      // 00000000559C: BF0A513C
	s_cselect_b32 s57, s57, 0                                  // 0000000055A0: 85398039
	s_add_u32 s60, 0x200, s80                                  // 0000000055A4: 803C50FF 00000200
	s_cmp_lt_u32 s60, s81                                      // 0000000055AC: BF0A513C
	s_cselect_b32 s58, s58, 0                                  // 0000000055B0: 853A803A
	s_add_u32 s20, s57, s20                                    // 0000000055B4: 80141439
	s_addc_u32 s21, 0, s21                                     // 0000000055B8: 82151580
	s_add_u32 s24, s58, s24                                    // 0000000055BC: 8018183A
	s_addc_u32 s25, 0, s25                                     // 0000000055C0: 82191980
	s_addk_i32 s80, 0x100                                      // 0000000055C4: B7500100
	s_cmp_lt_i32 s80, s81                                      // 0000000055C8: BF045150
	s_cbranch_scc0 label_0B45                                  // 0000000055CC: BF840091
	s_waitcnt vmcnt(0) lgkmcnt(0)                              // 0000000055D0: BF8C0070
	s_barrier                                                  // 0000000055D4: BF8A0000
	v_mfma_i32_16x16x32_i8 v[128:131], a[32:33], v[176:177], v[128:131]// 0000000055D8: D3D70080 0E036120
	buffer_load_dwordx4 a[0:3], v32, s[24:27], 0 offen         // 0000000055E0: E05C1000 80860020
	v_mfma_i32_16x16x32_i8 v[128:131], a[34:35], v[178:179], v[128:131]// 0000000055E8: D3D70080 0E036522
	v_mfma_i32_16x16x32_i8 v[128:131], a[36:37], v[180:181], v[128:131]// 0000000055F0: D3D70080 0E036924
	buffer_load_dword v24, s[20:23], 0 offen lds               // 0000000055F8: E0511000 80050018
	s_add_u32 m0, 0x100, s51                                   // 000000005600: 807C33FF 00000100
	ds_read_b128 v[144:147], v2                                // 000000005608: D9FE0000 90000002
	v_mfma_i32_16x16x32_i8 v[128:131], a[38:39], v[182:183], v[128:131]// 000000005610: D3D70080 0E036D26
	v_mfma_i32_16x16x32_i8 v[128:131], a[40:41], v[184:185], v[128:131]// 000000005618: D3D70080 0E037128
	buffer_load_dwordx4 a[4:7], v32, s[24:27], 0 offen offset:1024// 000000005620: E05C1400 80860420
	v_mfma_i32_16x16x32_i8 v[128:131], a[42:43], v[186:187], v[128:131]// 000000005628: D3D70080 0E03752A
	v_mfma_i32_16x16x32_i8 v[128:131], a[44:45], v[188:189], v[128:131]// 000000005630: D3D70080 0E03792C
	buffer_load_dword v25, s[20:23], 0 offen lds               // 000000005638: E0511000 80050019
	s_add_u32 m0, 0x200, s51                                   // 000000005640: 807C33FF 00000200
	ds_read_b128 v[148:151], v2 offset:64                      // 000000005648: D9FE0040 94000002
	v_mfma_i32_16x16x32_i8 v[128:131], a[46:47], v[190:191], v[128:131]// 000000005650: D3D70080 0E037D2E
	v_mfma_i32_16x16x32_i8 v[132:135], a[32:33], v[192:193], v[132:135]// 000000005658: D3D70084 0E138120
	buffer_load_dwordx4 a[8:11], v32, s[24:27], 0 offen offset:2048// 000000005660: E05C1800 80860820
	v_mfma_i32_16x16x32_i8 v[132:135], a[34:35], v[194:195], v[132:135]// 000000005668: D3D70084 0E138522
	v_mfma_i32_16x16x32_i8 v[132:135], a[36:37], v[196:197], v[132:135]// 000000005670: D3D70084 0E138924
	buffer_load_dword v26, s[20:23], 0 offen lds               // 000000005678: E0511000 8005001A
	s_add_u32 m0, 0x300, s51                                   // 000000005680: 807C33FF 00000300
	ds_read_b128 v[152:155], v2 offset:128                     // 000000005688: D9FE0080 98000002
	v_mfma_i32_16x16x32_i8 v[132:135], a[38:39], v[198:199], v[132:135]// 000000005690: D3D70084 0E138D26
	v_mfma_i32_16x16x32_i8 v[132:135], a[40:41], v[200:201], v[132:135]// 000000005698: D3D70084 0E139128
	buffer_load_dwordx4 a[12:15], v32, s[24:27], 0 offen offset:3072// 0000000056A0: E05C1C00 80860C20
	v_mfma_i32_16x16x32_i8 v[132:135], a[42:43], v[202:203], v[132:135]// 0000000056A8: D3D70084 0E13952A
	v_mfma_i32_16x16x32_i8 v[132:135], a[44:45], v[204:205], v[132:135]// 0000000056B0: D3D70084 0E13992C
	buffer_load_dword v27, s[20:23], 0 offen lds               // 0000000056B8: E0511000 8005001B
	s_add_u32 m0, 0x400, s51                                   // 0000000056C0: 807C33FF 00000400
	ds_read_b128 v[156:159], v2 offset:192                     // 0000000056C8: D9FE00C0 9C000002
	v_mfma_i32_16x16x32_i8 v[132:135], a[46:47], v[206:207], v[132:135]// 0000000056D0: D3D70084 0E139D2E
	v_mfma_i32_16x16x32_i8 v[136:139], a[48:49], v[176:177], v[136:139]// 0000000056D8: D3D70088 0E236130
	buffer_load_dwordx4 a[16:19], v33, s[24:27], 0 offen       // 0000000056E0: E05C1000 80861021
	v_mfma_i32_16x16x32_i8 v[136:139], a[50:51], v[178:179], v[136:139]// 0000000056E8: D3D70088 0E236532
	v_mfma_i32_16x16x32_i8 v[136:139], a[52:53], v[180:181], v[136:139]// 0000000056F0: D3D70088 0E236934
	buffer_load_dword v28, s[20:23], 0 offen lds               // 0000000056F8: E0511000 8005001C
	s_add_u32 m0, 0x500, s51                                   // 000000005700: 807C33FF 00000500
	ds_read_b128 v[160:163], v2 offset:1024                    // 000000005708: D9FE0400 A0000002
	v_mfma_i32_16x16x32_i8 v[136:139], a[54:55], v[182:183], v[136:139]// 000000005710: D3D70088 0E236D36
	v_mfma_i32_16x16x32_i8 v[136:139], a[56:57], v[184:185], v[136:139]// 000000005718: D3D70088 0E237138
	buffer_load_dwordx4 a[20:23], v33, s[24:27], 0 offen offset:1024// 000000005720: E05C1400 80861421
	v_mfma_i32_16x16x32_i8 v[136:139], a[58:59], v[186:187], v[136:139]// 000000005728: D3D70088 0E23753A
	v_mfma_i32_16x16x32_i8 v[136:139], a[60:61], v[188:189], v[136:139]// 000000005730: D3D70088 0E23793C
	buffer_load_dword v29, s[20:23], 0 offen lds               // 000000005738: E0511000 8005001D
	s_add_u32 m0, 0x600, s51                                   // 000000005740: 807C33FF 00000600
	ds_read_b128 v[164:167], v2 offset:1088                    // 000000005748: D9FE0440 A4000002
	v_mfma_i32_16x16x32_i8 v[136:139], a[62:63], v[190:191], v[136:139]// 000000005750: D3D70088 0E237D3E
	v_mfma_i32_16x16x32_i8 v[140:143], a[48:49], v[192:193], v[140:143]// 000000005758: D3D7008C 0E338130
	buffer_load_dwordx4 a[24:27], v33, s[24:27], 0 offen offset:2048// 000000005760: E05C1800 80861821
	v_mfma_i32_16x16x32_i8 v[140:143], a[50:51], v[194:195], v[140:143]// 000000005768: D3D7008C 0E338532
	v_mfma_i32_16x16x32_i8 v[140:143], a[52:53], v[196:197], v[140:143]// 000000005770: D3D7008C 0E338934
	buffer_load_dword v30, s[20:23], 0 offen lds               // 000000005778: E0511000 8005001E
	s_add_u32 m0, 0x700, s51                                   // 000000005780: 807C33FF 00000700
	ds_read_b128 v[168:171], v2 offset:1152                    // 000000005788: D9FE0480 A8000002
	v_mfma_i32_16x16x32_i8 v[140:143], a[54:55], v[198:199], v[140:143]// 000000005790: D3D7008C 0E338D36
	v_mfma_i32_16x16x32_i8 v[140:143], a[56:57], v[200:201], v[140:143]// 000000005798: D3D7008C 0E339138
	buffer_load_dwordx4 a[28:31], v33, s[24:27], 0 offen offset:3072// 0000000057A0: E05C1C00 80861C21
	v_mfma_i32_16x16x32_i8 v[140:143], a[58:59], v[202:203], v[140:143]// 0000000057A8: D3D7008C 0E33953A
	v_mfma_i32_16x16x32_i8 v[140:143], a[60:61], v[204:205], v[140:143]// 0000000057B0: D3D7008C 0E33993C
	buffer_load_dword v31, s[20:23], 0 offen lds               // 0000000057B8: E0511000 8005001F
	s_add_u32 m0, 0, s50                                       // 0000000057C0: 807C3280
	ds_read_b128 v[172:175], v2 offset:1216                    // 0000000057C4: D9FE04C0 AC000002
	v_mfma_i32_16x16x32_i8 v[140:143], a[62:63], v[206:207], v[140:143]// 0000000057CC: D3D7008C 0E339D3E
	s_add_u32 s60, 0x300, s80                                  // 0000000057D4: 803C50FF 00000300
	s_cmp_lt_u32 s60, s81                                      // 0000000057DC: BF0A513C
	s_cselect_b32 s57, s57, 0                                  // 0000000057E0: 85398039
	s_add_u32 s60, 0x200, s80                                  // 0000000057E4: 803C50FF 00000200
	s_cmp_lt_u32 s60, s81                                      // 0000000057EC: BF0A513C
	s_cselect_b32 s58, s58, 0                                  // 0000000057F0: 853A803A
	s_add_u32 s20, s57, s20                                    // 0000000057F4: 80141439
	s_addc_u32 s21, 0, s21                                     // 0000000057F8: 82151580
	s_add_u32 s24, s58, s24                                    // 0000000057FC: 8018183A
	s_addc_u32 s25, 0, s25                                     // 000000005800: 82191980
	s_addk_i32 s80, 0x100                                      // 000000005804: B7500100
	s_cmp_lt_i32 s80, s81                                      // 000000005808: BF045150
	s_cbranch_scc0 label_0B45                                  // 00000000580C: BF840001
	s_branch label_0A24                                        // 000000005810: BF82FEDF

0000000000005814 <label_0B45>:
	s_mov_b32 s36, -1                                          // 000000005814: BEA400C1
	s_mov_b32 s37, -1                                          // 000000005818: BEA500C1
	s_mov_b64 s[60:61], 0                                      // 00000000581C: BEBC0180
	s_cmp_lt_u32 s82, s66                                      // 000000005820: BF0A4252
	s_cselect_b64 s[20:21], s[36:37], s[60:61]                 // 000000005824: 85943C24
	s_cmp_lt_u32 s83, s66                                      // 000000005828: BF0A4253
	s_cselect_b64 s[22:23], s[36:37], s[60:61]                 // 00000000582C: 85963C24
	s_cmp_lt_u32 s84, s66                                      // 000000005830: BF0A4254
	s_cselect_b64 s[24:25], s[36:37], s[60:61]                 // 000000005834: 85983C24
	s_cmp_lt_u32 s85, s66                                      // 000000005838: BF0A4255
	s_cselect_b64 s[26:27], s[36:37], s[60:61]                 // 00000000583C: 859A3C24
	s_cmp_lt_u32 s86, s66                                      // 000000005840: BF0A4256
	s_cselect_b64 s[28:29], s[36:37], s[60:61]                 // 000000005844: 859C3C24
	s_cmp_lt_u32 s87, s66                                      // 000000005848: BF0A4257
	s_cselect_b64 s[30:31], s[36:37], s[60:61]                 // 00000000584C: 859E3C24
	s_cmp_lt_u32 s88, s66                                      // 000000005850: BF0A4258
	s_cselect_b64 s[32:33], s[36:37], s[60:61]                 // 000000005854: 85A03C24
	s_cmp_lt_u32 s89, s66                                      // 000000005858: BF0A4259
	s_cselect_b64 s[34:35], s[36:37], s[60:61]                 // 00000000585C: 85A23C24
	v_cvt_f32_i32_e32 v128, v128                               // 000000005860: 7F000B80
	v_cvt_f32_i32_e32 v129, v129                               // 000000005864: 7F020B81
	v_cvt_f32_i32_e32 v130, v130                               // 000000005868: 7F040B82
	v_cvt_f32_i32_e32 v131, v131                               // 00000000586C: 7F060B83
	v_mul_f32_e32 v128, v13, v128                              // 000000005870: 0B01010D
	v_mul_f32_e32 v129, v13, v129                              // 000000005874: 0B03030D
	v_mul_f32_e32 v130, v13, v130                              // 000000005878: 0B05050D
	v_mul_f32_e32 v131, v13, v131                              // 00000000587C: 0B07070D
	v_mul_f32_dpp v128, v15, v128 row_newbcast:0 row_mask:0xf bank_mask:0xf// 000000005880: 0B0100FA FF01500F
	v_mul_f32_dpp v129, v15, v129 row_newbcast:1 row_mask:0xf bank_mask:0xf// 000000005888: 0B0302FA FF01510F
	v_mul_f32_dpp v130, v15, v130 row_newbcast:2 row_mask:0xf bank_mask:0xf// 000000005890: 0B0504FA FF01520F
	v_mul_f32_dpp v131, v15, v131 row_newbcast:3 row_mask:0xf bank_mask:0xf// 000000005898: 0B0706FA FF01530F
	v_cvt_f32_i32_e32 v132, v132                               // 0000000058A0: 7F080B84
	v_cvt_f32_i32_e32 v133, v133                               // 0000000058A4: 7F0A0B85
	v_cvt_f32_i32_e32 v134, v134                               // 0000000058A8: 7F0C0B86
	v_cvt_f32_i32_e32 v135, v135                               // 0000000058AC: 7F0E0B87
	v_mul_f32_e32 v132, v14, v132                              // 0000000058B0: 0B09090E
	v_mul_f32_e32 v133, v14, v133                              // 0000000058B4: 0B0B0B0E
	v_mul_f32_e32 v134, v14, v134                              // 0000000058B8: 0B0D0D0E
	v_mul_f32_e32 v135, v14, v135                              // 0000000058BC: 0B0F0F0E
	v_mul_f32_dpp v132, v15, v132 row_newbcast:0 row_mask:0xf bank_mask:0xf// 0000000058C0: 0B0908FA FF01500F
	v_mul_f32_dpp v133, v15, v133 row_newbcast:1 row_mask:0xf bank_mask:0xf// 0000000058C8: 0B0B0AFA FF01510F
	v_mul_f32_dpp v134, v15, v134 row_newbcast:2 row_mask:0xf bank_mask:0xf// 0000000058D0: 0B0D0CFA FF01520F
	v_mul_f32_dpp v135, v15, v135 row_newbcast:3 row_mask:0xf bank_mask:0xf// 0000000058D8: 0B0F0EFA FF01530F
	v_cvt_f32_i32_e32 v136, v136                               // 0000000058E0: 7F100B88
	v_cvt_f32_i32_e32 v137, v137                               // 0000000058E4: 7F120B89
	v_cvt_f32_i32_e32 v138, v138                               // 0000000058E8: 7F140B8A
	v_cvt_f32_i32_e32 v139, v139                               // 0000000058EC: 7F160B8B
	v_mul_f32_e32 v136, v13, v136                              // 0000000058F0: 0B11110D
	v_mul_f32_e32 v137, v13, v137                              // 0000000058F4: 0B13130D
	v_mul_f32_e32 v138, v13, v138                              // 0000000058F8: 0B15150D
	v_mul_f32_e32 v139, v13, v139                              // 0000000058FC: 0B17170D
	v_mul_f32_dpp v136, v15, v136 row_newbcast:4 row_mask:0xf bank_mask:0xf// 000000005900: 0B1110FA FF01540F
	v_mul_f32_dpp v137, v15, v137 row_newbcast:5 row_mask:0xf bank_mask:0xf// 000000005908: 0B1312FA FF01550F
	v_mul_f32_dpp v138, v15, v138 row_newbcast:6 row_mask:0xf bank_mask:0xf// 000000005910: 0B1514FA FF01560F
	v_mul_f32_dpp v139, v15, v139 row_newbcast:7 row_mask:0xf bank_mask:0xf// 000000005918: 0B1716FA FF01570F
	v_cvt_f32_i32_e32 v140, v140                               // 000000005920: 7F180B8C
	v_cvt_f32_i32_e32 v141, v141                               // 000000005924: 7F1A0B8D
	v_cvt_f32_i32_e32 v142, v142                               // 000000005928: 7F1C0B8E
	v_cvt_f32_i32_e32 v143, v143                               // 00000000592C: 7F1E0B8F
	v_mul_f32_e32 v140, v14, v140                              // 000000005930: 0B19190E
	v_mul_f32_e32 v141, v14, v141                              // 000000005934: 0B1B1B0E
	v_mul_f32_e32 v142, v14, v142                              // 000000005938: 0B1D1D0E
	v_mul_f32_e32 v143, v14, v143                              // 00000000593C: 0B1F1F0E
	v_mul_f32_dpp v140, v15, v140 row_newbcast:4 row_mask:0xf bank_mask:0xf// 000000005940: 0B1918FA FF01540F
	v_mul_f32_dpp v141, v15, v141 row_newbcast:5 row_mask:0xf bank_mask:0xf// 000000005948: 0B1B1AFA FF01550F
	v_mul_f32_dpp v142, v15, v142 row_newbcast:6 row_mask:0xf bank_mask:0xf// 000000005950: 0B1D1CFA FF01560F
	v_mul_f32_dpp v143, v15, v143 row_newbcast:7 row_mask:0xf bank_mask:0xf// 000000005958: 0B1F1EFA FF01570F
	s_waitcnt vmcnt(4)                                         // 000000005960: BF8C0F74
	buffer_load_dwordx4 a[0:3], v34, s[12:15], 0 offen         // 000000005964: E05C1000 80830022
	v_mul_f32_e32 v42, v128, v128                              // 00000000596C: 0A550180
	v_mul_f32_e32 v43, v129, v129                              // 000000005970: 0A570381
	v_mul_f32_e32 v44, v130, v130                              // 000000005974: 0A590582
	v_mul_f32_e32 v45, v131, v131                              // 000000005978: 0A5B0783
	v_fma_f32 v42, v42, s77, v1                                // 00000000597C: D1CB002A 04049B2A
	v_fma_f32 v43, v43, s77, v1                                // 000000005984: D1CB002B 04049B2B
	v_fma_f32 v44, v44, s77, v1                                // 00000000598C: D1CB002C 04049B2C
	v_fma_f32 v45, v45, s77, v1                                // 000000005994: D1CB002D 04049B2D
	v_mul_f32_e32 v42, v42, v128                               // 00000000599C: 0A55012A
	v_mul_f32_e32 v43, v43, v129                               // 0000000059A0: 0A57032B
	v_mul_f32_e32 v44, v44, v130                               // 0000000059A4: 0A59052C
	v_mul_f32_e32 v45, v45, v131                               // 0000000059A8: 0A5B072D
	v_mul_f32_e64 v42, v42, s6                                 // 0000000059AC: D105002A 00000D2A
	v_mul_f32_e64 v43, v43, s6                                 // 0000000059B4: D105002B 00000D2B
	v_mul_f32_e64 v44, v44, s6                                 // 0000000059BC: D105002C 00000D2C
	v_mul_f32_e64 v45, v45, s6                                 // 0000000059C4: D105002D 00000D2D
	v_exp_f32_e32 v42, v42                                     // 0000000059CC: 7E54412A
	v_exp_f32_e32 v43, v43                                     // 0000000059D0: 7E56412B
	v_exp_f32_e32 v44, v44                                     // 0000000059D4: 7E58412C
	v_exp_f32_e32 v45, v45                                     // 0000000059D8: 7E5A412D
	buffer_load_dwordx4 a[4:7], v35, s[12:15], 0 offen         // 0000000059DC: E05C1000 80830423
	v_add_f32_e64 v42, v42, 1.0                                // 0000000059E4: D101002A 0001E52A
	v_add_f32_e64 v43, v43, 1.0                                // 0000000059EC: D101002B 0001E52B
	v_add_f32_e64 v44, v44, 1.0                                // 0000000059F4: D101002C 0001E52C
	v_add_f32_e64 v45, v45, 1.0                                // 0000000059FC: D101002D 0001E52D
	v_rcp_f32_e32 v42, v42                                     // 000000005A04: 7E54452A
	v_rcp_f32_e32 v43, v43                                     // 000000005A08: 7E56452B
	v_rcp_f32_e32 v44, v44                                     // 000000005A0C: 7E58452C
	v_rcp_f32_e32 v45, v45                                     // 000000005A10: 7E5A452D
	v_mul_f32_e32 v128, v128, v42                              // 000000005A14: 0B005580
	v_mul_f32_e32 v129, v129, v43                              // 000000005A18: 0B025781
	v_mul_f32_e32 v130, v130, v44                              // 000000005A1C: 0B045982
	v_mul_f32_e32 v131, v131, v45                              // 000000005A20: 0B065B83
	buffer_load_dwordx4 a[8:11], v36, s[12:15], 0 offen        // 000000005A24: E05C1000 80830824
	v_mul_f32_e32 v42, v132, v132                              // 000000005A2C: 0A550984
	v_mul_f32_e32 v43, v133, v133                              // 000000005A30: 0A570B85
	v_mul_f32_e32 v44, v134, v134                              // 000000005A34: 0A590D86
	v_mul_f32_e32 v45, v135, v135                              // 000000005A38: 0A5B0F87
	v_fma_f32 v42, v42, s77, v1                                // 000000005A3C: D1CB002A 04049B2A
	v_fma_f32 v43, v43, s77, v1                                // 000000005A44: D1CB002B 04049B2B
	v_fma_f32 v44, v44, s77, v1                                // 000000005A4C: D1CB002C 04049B2C
	v_fma_f32 v45, v45, s77, v1                                // 000000005A54: D1CB002D 04049B2D
	v_mul_f32_e32 v42, v42, v132                               // 000000005A5C: 0A55092A
	v_mul_f32_e32 v43, v43, v133                               // 000000005A60: 0A570B2B
	v_mul_f32_e32 v44, v44, v134                               // 000000005A64: 0A590D2C
	v_mul_f32_e32 v45, v45, v135                               // 000000005A68: 0A5B0F2D
	v_mul_f32_e64 v42, v42, s6                                 // 000000005A6C: D105002A 00000D2A
	v_mul_f32_e64 v43, v43, s6                                 // 000000005A74: D105002B 00000D2B
	v_mul_f32_e64 v44, v44, s6                                 // 000000005A7C: D105002C 00000D2C
	v_mul_f32_e64 v45, v45, s6                                 // 000000005A84: D105002D 00000D2D
	v_exp_f32_e32 v42, v42                                     // 000000005A8C: 7E54412A
	v_exp_f32_e32 v43, v43                                     // 000000005A90: 7E56412B
	v_exp_f32_e32 v44, v44                                     // 000000005A94: 7E58412C
	v_exp_f32_e32 v45, v45                                     // 000000005A98: 7E5A412D
	buffer_load_dwordx4 a[12:15], v37, s[12:15], 0 offen       // 000000005A9C: E05C1000 80830C25
	s_add_u32 s12, s78, s12                                    // 000000005AA4: 800C0C4E
	s_addc_u32 s13, 0, s13                                     // 000000005AA8: 820D0D80
	v_add_f32_e64 v42, v42, 1.0                                // 000000005AAC: D101002A 0001E52A
	v_add_f32_e64 v43, v43, 1.0                                // 000000005AB4: D101002B 0001E52B
	v_add_f32_e64 v44, v44, 1.0                                // 000000005ABC: D101002C 0001E52C
	v_add_f32_e64 v45, v45, 1.0                                // 000000005AC4: D101002D 0001E52D
	v_rcp_f32_e32 v42, v42                                     // 000000005ACC: 7E54452A
	v_rcp_f32_e32 v43, v43                                     // 000000005AD0: 7E56452B
	v_rcp_f32_e32 v44, v44                                     // 000000005AD4: 7E58452C
	v_rcp_f32_e32 v45, v45                                     // 000000005AD8: 7E5A452D
	v_mul_f32_e32 v132, v132, v42                              // 000000005ADC: 0B085584
	v_mul_f32_e32 v133, v133, v43                              // 000000005AE0: 0B0A5785
	v_mul_f32_e32 v134, v134, v44                              // 000000005AE4: 0B0C5986
	v_mul_f32_e32 v135, v135, v45                              // 000000005AE8: 0B0E5B87
	s_waitcnt vmcnt(4)                                         // 000000005AEC: BF8C0F74
	buffer_load_dwordx4 a[16:19], v34, s[12:15], 0 offen       // 000000005AF0: E05C1000 80831022
	v_mul_f32_e32 v42, v136, v136                              // 000000005AF8: 0A551188
	v_mul_f32_e32 v43, v137, v137                              // 000000005AFC: 0A571389
	v_mul_f32_e32 v44, v138, v138                              // 000000005B00: 0A59158A
	v_mul_f32_e32 v45, v139, v139                              // 000000005B04: 0A5B178B
	v_fma_f32 v42, v42, s77, v1                                // 000000005B08: D1CB002A 04049B2A
	v_fma_f32 v43, v43, s77, v1                                // 000000005B10: D1CB002B 04049B2B
	v_fma_f32 v44, v44, s77, v1                                // 000000005B18: D1CB002C 04049B2C
	v_fma_f32 v45, v45, s77, v1                                // 000000005B20: D1CB002D 04049B2D
	v_mul_f32_e32 v42, v42, v136                               // 000000005B28: 0A55112A
	v_mul_f32_e32 v43, v43, v137                               // 000000005B2C: 0A57132B
	v_mul_f32_e32 v44, v44, v138                               // 000000005B30: 0A59152C
	v_mul_f32_e32 v45, v45, v139                               // 000000005B34: 0A5B172D
	v_mul_f32_e64 v42, v42, s6                                 // 000000005B38: D105002A 00000D2A
	v_mul_f32_e64 v43, v43, s6                                 // 000000005B40: D105002B 00000D2B
	v_mul_f32_e64 v44, v44, s6                                 // 000000005B48: D105002C 00000D2C
	v_mul_f32_e64 v45, v45, s6                                 // 000000005B50: D105002D 00000D2D
	v_exp_f32_e32 v42, v42                                     // 000000005B58: 7E54412A
	v_exp_f32_e32 v43, v43                                     // 000000005B5C: 7E56412B
	v_exp_f32_e32 v44, v44                                     // 000000005B60: 7E58412C
	v_exp_f32_e32 v45, v45                                     // 000000005B64: 7E5A412D
	buffer_load_dwordx4 a[20:23], v35, s[12:15], 0 offen       // 000000005B68: E05C1000 80831423
	v_add_f32_e64 v42, v42, 1.0                                // 000000005B70: D101002A 0001E52A
	v_add_f32_e64 v43, v43, 1.0                                // 000000005B78: D101002B 0001E52B
	v_add_f32_e64 v44, v44, 1.0                                // 000000005B80: D101002C 0001E52C
	v_add_f32_e64 v45, v45, 1.0                                // 000000005B88: D101002D 0001E52D
	v_rcp_f32_e32 v42, v42                                     // 000000005B90: 7E54452A
	v_rcp_f32_e32 v43, v43                                     // 000000005B94: 7E56452B
	v_rcp_f32_e32 v44, v44                                     // 000000005B98: 7E58452C
	v_rcp_f32_e32 v45, v45                                     // 000000005B9C: 7E5A452D
	v_mul_f32_e32 v136, v136, v42                              // 000000005BA0: 0B105588
	v_mul_f32_e32 v137, v137, v43                              // 000000005BA4: 0B125789
	v_mul_f32_e32 v138, v138, v44                              // 000000005BA8: 0B14598A
	v_mul_f32_e32 v139, v139, v45                              // 000000005BAC: 0B165B8B
	buffer_load_dwordx4 a[24:27], v36, s[12:15], 0 offen       // 000000005BB0: E05C1000 80831824
	v_mul_f32_e32 v42, v140, v140                              // 000000005BB8: 0A55198C
	v_mul_f32_e32 v43, v141, v141                              // 000000005BBC: 0A571B8D
	v_mul_f32_e32 v44, v142, v142                              // 000000005BC0: 0A591D8E
	v_mul_f32_e32 v45, v143, v143                              // 000000005BC4: 0A5B1F8F
	v_fma_f32 v42, v42, s77, v1                                // 000000005BC8: D1CB002A 04049B2A
	v_fma_f32 v43, v43, s77, v1                                // 000000005BD0: D1CB002B 04049B2B
	v_fma_f32 v44, v44, s77, v1                                // 000000005BD8: D1CB002C 04049B2C
	v_fma_f32 v45, v45, s77, v1                                // 000000005BE0: D1CB002D 04049B2D
	v_mul_f32_e32 v42, v42, v140                               // 000000005BE8: 0A55192A
	v_mul_f32_e32 v43, v43, v141                               // 000000005BEC: 0A571B2B
	v_mul_f32_e32 v44, v44, v142                               // 000000005BF0: 0A591D2C
	v_mul_f32_e32 v45, v45, v143                               // 000000005BF4: 0A5B1F2D
	v_mul_f32_e64 v42, v42, s6                                 // 000000005BF8: D105002A 00000D2A
	v_mul_f32_e64 v43, v43, s6                                 // 000000005C00: D105002B 00000D2B
	v_mul_f32_e64 v44, v44, s6                                 // 000000005C08: D105002C 00000D2C
	v_mul_f32_e64 v45, v45, s6                                 // 000000005C10: D105002D 00000D2D
	v_exp_f32_e32 v42, v42                                     // 000000005C18: 7E54412A
	v_exp_f32_e32 v43, v43                                     // 000000005C1C: 7E56412B
	v_exp_f32_e32 v44, v44                                     // 000000005C20: 7E58412C
	v_exp_f32_e32 v45, v45                                     // 000000005C24: 7E5A412D
	buffer_load_dwordx4 a[28:31], v37, s[12:15], 0 offen       // 000000005C28: E05C1000 80831C25
	v_add_f32_e64 v42, v42, 1.0                                // 000000005C30: D101002A 0001E52A
	v_add_f32_e64 v43, v43, 1.0                                // 000000005C38: D101002B 0001E52B
	v_add_f32_e64 v44, v44, 1.0                                // 000000005C40: D101002C 0001E52C
	v_add_f32_e64 v45, v45, 1.0                                // 000000005C48: D101002D 0001E52D
	v_rcp_f32_e32 v42, v42                                     // 000000005C50: 7E54452A
	v_rcp_f32_e32 v43, v43                                     // 000000005C54: 7E56452B
	v_rcp_f32_e32 v44, v44                                     // 000000005C58: 7E58452C
	v_rcp_f32_e32 v45, v45                                     // 000000005C5C: 7E5A452D
	v_mul_f32_e32 v140, v140, v42                              // 000000005C60: 0B18558C
	v_mul_f32_e32 v141, v141, v43                              // 000000005C64: 0B1A578D
	v_mul_f32_e32 v142, v142, v44                              // 000000005C68: 0B1C598E
	v_mul_f32_e32 v143, v143, v45                              // 000000005C6C: 0B1E5B8F
	v_mul_f32_dpp v128, v16, v128 row_newbcast:0 row_mask:0xf bank_mask:0xf// 000000005C70: 0B0100FA FF015010
	v_mul_f32_dpp v129, v16, v129 row_newbcast:1 row_mask:0xf bank_mask:0xf// 000000005C78: 0B0302FA FF015110
	v_mul_f32_dpp v130, v16, v130 row_newbcast:2 row_mask:0xf bank_mask:0xf// 000000005C80: 0B0504FA FF015210
	v_mul_f32_dpp v131, v16, v131 row_newbcast:3 row_mask:0xf bank_mask:0xf// 000000005C88: 0B0706FA FF015310
	v_mul_f32_dpp v132, v16, v132 row_newbcast:0 row_mask:0xf bank_mask:0xf// 000000005C90: 0B0908FA FF015010
	v_mul_f32_dpp v133, v16, v133 row_newbcast:1 row_mask:0xf bank_mask:0xf// 000000005C98: 0B0B0AFA FF015110
	v_mul_f32_dpp v134, v16, v134 row_newbcast:2 row_mask:0xf bank_mask:0xf// 000000005CA0: 0B0D0CFA FF015210
	v_mul_f32_dpp v135, v16, v135 row_newbcast:3 row_mask:0xf bank_mask:0xf// 000000005CA8: 0B0F0EFA FF015310
	v_mul_f32_dpp v136, v16, v136 row_newbcast:4 row_mask:0xf bank_mask:0xf// 000000005CB0: 0B1110FA FF015410
	v_mul_f32_dpp v137, v16, v137 row_newbcast:5 row_mask:0xf bank_mask:0xf// 000000005CB8: 0B1312FA FF015510
	v_mul_f32_dpp v138, v16, v138 row_newbcast:6 row_mask:0xf bank_mask:0xf// 000000005CC0: 0B1514FA FF015610
	v_mul_f32_dpp v139, v16, v139 row_newbcast:7 row_mask:0xf bank_mask:0xf// 000000005CC8: 0B1716FA FF015710
	v_mul_f32_dpp v140, v16, v140 row_newbcast:4 row_mask:0xf bank_mask:0xf// 000000005CD0: 0B1918FA FF015410
	v_mul_f32_dpp v141, v16, v141 row_newbcast:5 row_mask:0xf bank_mask:0xf// 000000005CD8: 0B1B1AFA FF015510
	v_mul_f32_dpp v142, v16, v142 row_newbcast:6 row_mask:0xf bank_mask:0xf// 000000005CE0: 0B1D1CFA FF015610
	v_mul_f32_dpp v143, v16, v143 row_newbcast:7 row_mask:0xf bank_mask:0xf// 000000005CE8: 0B1F1EFA FF015710
	buffer_load_dword v11, v5, s[16:19], 0 offen               // 000000005CF0: E0501000 80040B05
	v_mov_b32_e32 v20, 0x358637bd                              // 000000005CF8: 7E2802FF 358637BD
	v_mov_b32_e32 v21, 0x358637bd                              // 000000005D00: 7E2A02FF 358637BD
	v_max3_f32 v20, |v128|, |v129|, v20                        // 000000005D08: D1D30314 04530380
	v_max3_f32 v20, |v130|, |v131|, v20                        // 000000005D10: D1D30314 04530782
	v_max3_f32 v21, |v132|, |v133|, v21                        // 000000005D18: D1D30315 04570B84
	v_max3_f32 v21, |v134|, |v135|, v21                        // 000000005D20: D1D30315 04570F86
	v_max3_f32 v20, |v136|, |v137|, v20                        // 000000005D28: D1D30314 04531388
	v_max3_f32 v20, |v138|, |v139|, v20                        // 000000005D30: D1D30314 0453178A
	v_max3_f32 v21, |v140|, |v141|, v21                        // 000000005D38: D1D30315 04571B8C
	v_max3_f32 v21, |v142|, |v143|, v21                        // 000000005D40: D1D30315 04571F8E
	v_lshlrev_b32_e32 v42, 3, v0                               // 000000005D48: 24540083
	s_mul_i32 s60, 0x200, s7                                   // 000000005D4C: 923C07FF 00000200
	v_add_u32_e32 v42, s60, v42                                // 000000005D54: 6854543C
	ds_write_b64 v42, v[20:21] offset:16640                    // 000000005D58: D89A4100 0000142A
	s_waitcnt lgkmcnt(0)                                       // 000000005D60: BF8CC07F
	s_barrier                                                  // 000000005D64: BF8A0000
	v_and_b32_e32 v42, 15, v0                                  // 000000005D68: 2654008F
	v_lshlrev_b32_e32 v42, 3, v42                              // 000000005D6C: 24545483
	ds_read_b64 v[96:97], v42 offset:16640                     // 000000005D70: D8EC4100 6000002A
	ds_read_b64 v[98:99], v42 offset:16768                     // 000000005D78: D8EC4180 6200002A
	ds_read_b64 v[100:101], v42 offset:16896                   // 000000005D80: D8EC4200 6400002A
	ds_read_b64 v[102:103], v42 offset:17024                   // 000000005D88: D8EC4280 6600002A
	ds_read_b64 v[104:105], v42 offset:17152                   // 000000005D90: D8EC4300 6800002A
	ds_read_b64 v[106:107], v42 offset:17280                   // 000000005D98: D8EC4380 6A00002A
	ds_read_b64 v[108:109], v42 offset:17408                   // 000000005DA0: D8EC4400 6C00002A
	ds_read_b64 v[110:111], v42 offset:17536                   // 000000005DA8: D8EC4480 6E00002A
	ds_read_b64 v[112:113], v42 offset:17664                   // 000000005DB0: D8EC4500 7000002A
	ds_read_b64 v[114:115], v42 offset:17792                   // 000000005DB8: D8EC4580 7200002A
	ds_read_b64 v[116:117], v42 offset:17920                   // 000000005DC0: D8EC4600 7400002A
	ds_read_b64 v[118:119], v42 offset:18048                   // 000000005DC8: D8EC4680 7600002A
	ds_read_b64 v[120:121], v42 offset:18176                   // 000000005DD0: D8EC4700 7800002A
	ds_read_b64 v[122:123], v42 offset:18304                   // 000000005DD8: D8EC4780 7A00002A
	ds_read_b64 v[124:125], v42 offset:18432                   // 000000005DE0: D8EC4800 7C00002A
	ds_read_b64 v[126:127], v42 offset:18560                   // 000000005DE8: D8EC4880 7E00002A
	s_waitcnt lgkmcnt(0)                                       // 000000005DF0: BF8CC07F
	v_max3_f32 v20, |v96|, |v98|, v20                          // 000000005DF4: D1D30314 0452C560
	v_max3_f32 v21, |v97|, |v99|, v21                          // 000000005DFC: D1D30315 0456C761
	v_max3_f32 v20, |v100|, |v102|, v20                        // 000000005E04: D1D30314 0452CD64
	v_max3_f32 v21, |v101|, |v103|, v21                        // 000000005E0C: D1D30315 0456CF65
	v_max3_f32 v20, |v104|, |v106|, v20                        // 000000005E14: D1D30314 0452D568
	v_max3_f32 v21, |v105|, |v107|, v21                        // 000000005E1C: D1D30315 0456D769
	v_max3_f32 v20, |v108|, |v110|, v20                        // 000000005E24: D1D30314 0452DD6C
	v_max3_f32 v21, |v109|, |v111|, v21                        // 000000005E2C: D1D30315 0456DF6D
	v_max3_f32 v20, |v112|, |v114|, v20                        // 000000005E34: D1D30314 0452E570
	v_max3_f32 v21, |v113|, |v115|, v21                        // 000000005E3C: D1D30315 0456E771
	v_max3_f32 v20, |v116|, |v118|, v20                        // 000000005E44: D1D30314 0452ED74
	v_max3_f32 v21, |v117|, |v119|, v21                        // 000000005E4C: D1D30315 0456EF75
	v_max3_f32 v20, |v120|, |v122|, v20                        // 000000005E54: D1D30314 0452F578
	v_max3_f32 v21, |v121|, |v123|, v21                        // 000000005E5C: D1D30315 0456F779
	v_max3_f32 v20, |v124|, |v126|, v20                        // 000000005E64: D1D30314 0452FD7C
	v_max3_f32 v21, |v125|, |v127|, v21                        // 000000005E6C: D1D30315 0456FF7D
	v_rcp_f32_e32 v20, v20                                     // 000000005E74: 7E284514
	v_rcp_f32_e32 v21, v21                                     // 000000005E78: 7E2A4515
	v_mul_f32_e32 v20, 0x42fe0000, v20                         // 000000005E7C: 0A2828FF 42FE0000
	v_mul_f32_e32 v21, 0x42fe0000, v21                         // 000000005E84: 0A2A2AFF 42FE0000
	v_mul_f32_e32 v128, v20, v128                              // 000000005E8C: 0B010114
	v_mul_f32_e32 v129, v20, v129                              // 000000005E90: 0B030314
	v_mul_f32_e32 v130, v20, v130                              // 000000005E94: 0B050514
	v_mul_f32_e32 v131, v20, v131                              // 000000005E98: 0B070714
	v_cvt_i32_f32_e32 v128, v128                               // 000000005E9C: 7F001180
	v_cvt_i32_f32_e32 v129, v129                               // 000000005EA0: 7F021181
	v_cvt_i32_f32_e32 v130, v130                               // 000000005EA4: 7F041182
	v_cvt_i32_f32_e32 v131, v131                               // 000000005EA8: 7F061183
	v_perm_b32 v128, v129, v128, s53                           // 000000005EAC: D1ED0080 00D70181
	v_perm_b32 v128, v130, v128, s54                           // 000000005EB4: D1ED0080 00DB0182
	v_perm_b32 v128, v131, v128, s55                           // 000000005EBC: D1ED0080 00DF0183
	v_mul_f32_e32 v132, v21, v132                              // 000000005EC4: 0B090915
	v_mul_f32_e32 v133, v21, v133                              // 000000005EC8: 0B0B0B15
	v_mul_f32_e32 v134, v21, v134                              // 000000005ECC: 0B0D0D15
	v_mul_f32_e32 v135, v21, v135                              // 000000005ED0: 0B0F0F15
	v_cvt_i32_f32_e32 v132, v132                               // 000000005ED4: 7F081184
	v_cvt_i32_f32_e32 v133, v133                               // 000000005ED8: 7F0A1185
	v_cvt_i32_f32_e32 v134, v134                               // 000000005EDC: 7F0C1186
	v_cvt_i32_f32_e32 v135, v135                               // 000000005EE0: 7F0E1187
	v_perm_b32 v129, v133, v132, s53                           // 000000005EE4: D1ED0081 00D70985
	v_perm_b32 v129, v134, v129, s54                           // 000000005EEC: D1ED0081 00DB0386
	v_perm_b32 v129, v135, v129, s55                           // 000000005EF4: D1ED0081 00DF0387
	v_mul_f32_e32 v136, v20, v136                              // 000000005EFC: 0B111114
	v_mul_f32_e32 v137, v20, v137                              // 000000005F00: 0B131314
	v_mul_f32_e32 v138, v20, v138                              // 000000005F04: 0B151514
	v_mul_f32_e32 v139, v20, v139                              // 000000005F08: 0B171714
	v_cvt_i32_f32_e32 v136, v136                               // 000000005F0C: 7F101188
	v_cvt_i32_f32_e32 v137, v137                               // 000000005F10: 7F121189
	v_cvt_i32_f32_e32 v138, v138                               // 000000005F14: 7F14118A
	v_cvt_i32_f32_e32 v139, v139                               // 000000005F18: 7F16118B
	v_perm_b32 v130, v137, v136, s53                           // 000000005F1C: D1ED0082 00D71189
	v_perm_b32 v130, v138, v130, s54                           // 000000005F24: D1ED0082 00DB058A
	v_perm_b32 v130, v139, v130, s55                           // 000000005F2C: D1ED0082 00DF058B
	v_mul_f32_e32 v140, v21, v140                              // 000000005F34: 0B191915
	v_mul_f32_e32 v141, v21, v141                              // 000000005F38: 0B1B1B15
	v_mul_f32_e32 v142, v21, v142                              // 000000005F3C: 0B1D1D15
	v_mul_f32_e32 v143, v21, v143                              // 000000005F40: 0B1F1F15
	v_cvt_i32_f32_e32 v140, v140                               // 000000005F44: 7F18118C
	v_cvt_i32_f32_e32 v141, v141                               // 000000005F48: 7F1A118D
	v_cvt_i32_f32_e32 v142, v142                               // 000000005F4C: 7F1C118E
	v_cvt_i32_f32_e32 v143, v143                               // 000000005F50: 7F1E118F
	v_perm_b32 v131, v141, v140, s53                           // 000000005F54: D1ED0083 00D7198D
	v_perm_b32 v131, v142, v131, s54                           // 000000005F5C: D1ED0083 00DB078E
	v_perm_b32 v131, v143, v131, s55                           // 000000005F64: D1ED0083 00DF078F
	v_rcp_f32_e32 v22, v20                                     // 000000005F6C: 7E2C4514
	v_rcp_f32_e32 v23, v21                                     // 000000005F70: 7E2E4515
	v_lshrrev_b32_e32 v42, 5, v0                               // 000000005F74: 20540085
	v_lshlrev_b32_e32 v43, 5, v42                              // 000000005F78: 24565485
	v_and_b32_e32 v42, 31, v0                                  // 000000005F7C: 2654009F
	v_lshrrev_b32_e32 v44, 4, v42                              // 000000005F80: 20585484
	v_add_u32_e32 v43, v44, v43                                // 000000005F84: 6856572C
	v_and_b32_e32 v42, 15, v0                                  // 000000005F88: 2654008F
	v_lshlrev_b32_e32 v42, 1, v42                              // 000000005F8C: 24545481
	v_add_u32_e32 v43, v42, v43                                // 000000005F90: 6856572A
	v_lshlrev_b32_e32 v42, 2, v43                              // 000000005F94: 24545682
	s_mul_i32 s60, 0x100, s7                                   // 000000005F98: 923C07FF 00000100
	v_add_u32_e64 v42, v42, s60                                // 000000005FA0: D134002A 0000792A
	ds_write_b32 v42, v128 offset:18688                        // 000000005FA8: D81A4900 0000802A
	ds_write_b32 v42, v129 offset:20736                        // 000000005FB0: D81A5100 0000812A
	ds_write_b32 v42, v130 offset:19712                        // 000000005FB8: D81A4D00 0000822A
	ds_write_b32 v42, v131 offset:21760                        // 000000005FC0: D81A5500 0000832A
	s_waitcnt lgkmcnt(0)                                       // 000000005FC8: BF8CC07F
	s_barrier                                                  // 000000005FCC: BF8A0000
	v_lshrrev_b32_e32 v42, 4, v0                               // 000000005FD0: 20540084
	v_lshlrev_b32_e32 v43, 6, v42                              // 000000005FD4: 24565486
	v_and_b32_e32 v42, 15, v0                                  // 000000005FD8: 2654008F
	v_lshlrev_b32_e32 v42, 1, v42                              // 000000005FDC: 24545481
	v_add_u32_e32 v43, v42, v43                                // 000000005FE0: 6856572A
	v_lshlrev_b32_e32 v42, 2, v43                              // 000000005FE4: 24545682
	ds_read_b64 v[128:129], v42 offset:18688                   // 000000005FE8: D8EC4900 8000002A
	ds_read_b64 v[130:131], v42 offset:18816                   // 000000005FF0: D8EC4980 8200002A
	ds_read_b64 v[132:133], v42 offset:19712                   // 000000005FF8: D8EC4D00 8400002A
	ds_read_b64 v[134:135], v42 offset:19840                   // 000000006000: D8EC4D80 8600002A
	ds_read_b64 v[136:137], v42 offset:20736                   // 000000006008: D8EC5100 8800002A
	ds_read_b64 v[138:139], v42 offset:20864                   // 000000006010: D8EC5180 8A00002A
	ds_read_b64 v[140:141], v42 offset:21760                   // 000000006018: D8EC5500 8C00002A
	ds_read_b64 v[142:143], v42 offset:21888                   // 000000006020: D8EC5580 8E00002A
	s_add_u32 s12, s56, s12                                    // 000000006028: 800C0C38
	s_addc_u32 s13, 0, s13                                     // 00000000602C: 820D0D80
	s_add_u32 s16, s79, s16                                    // 000000006030: 8010104F
	s_addc_u32 s17, 0, s17                                     // 000000006034: 82111180
	s_mov_b32 s80, 0                                           // 000000006038: BED00080
	s_waitcnt vmcnt(0) expcnt(0) lgkmcnt(0)                    // 00000000603C: BF8C0000

0000000000006040 <label_0D50>:
	s_waitcnt vmcnt(21)                                        // 000000006040: BF8C4F75
	s_barrier                                                  // 000000006044: BF8A0000
	v_mfma_i32_16x16x32_i8 v[144:147], a[0:1], v[128:129], 0   // 000000006048: D3D70090 0A030100
	buffer_load_dwordx4 a[32:35], v34, s[12:15], 0 offen       // 000000006050: E05C1000 80832022
	v_mfma_i32_16x16x32_i8 v[144:147], a[2:3], v[130:131], v[144:147]// 000000006058: D3D70090 0E430502
	v_mfma_i32_16x16x32_i8 v[148:151], a[0:1], v[136:137], 0   // 000000006060: D3D70094 0A031100
	v_mfma_i32_16x16x32_i8 v[148:151], a[2:3], v[138:139], v[148:151]// 000000006068: D3D70094 0E531502
	v_mfma_i32_16x16x32_i8 v[152:155], a[4:5], v[128:129], 0   // 000000006070: D3D70098 0A030104
	buffer_load_dwordx4 a[36:39], v35, s[12:15], 0 offen       // 000000006078: E05C1000 80832423
	v_mfma_i32_16x16x32_i8 v[152:155], a[6:7], v[130:131], v[152:155]// 000000006080: D3D70098 0E630506
	v_mfma_i32_16x16x32_i8 v[156:159], a[4:5], v[136:137], 0   // 000000006088: D3D7009C 0A031104
	v_mfma_i32_16x16x32_i8 v[156:159], a[6:7], v[138:139], v[156:159]// 000000006090: D3D7009C 0E731506
	v_mfma_i32_16x16x32_i8 v[160:163], a[8:9], v[128:129], 0   // 000000006098: D3D700A0 0A030108
	buffer_load_dwordx4 a[40:43], v36, s[12:15], 0 offen       // 0000000060A0: E05C1000 80832824
	v_mfma_i32_16x16x32_i8 v[160:163], a[10:11], v[130:131], v[160:163]// 0000000060A8: D3D700A0 0E83050A
	v_mfma_i32_16x16x32_i8 v[164:167], a[8:9], v[136:137], 0   // 0000000060B0: D3D700A4 0A031108
	v_mfma_i32_16x16x32_i8 v[164:167], a[10:11], v[138:139], v[164:167]// 0000000060B8: D3D700A4 0E93150A
	v_mfma_i32_16x16x32_i8 v[168:171], a[12:13], v[128:129], 0 // 0000000060C0: D3D700A8 0A03010C
	buffer_load_dwordx4 a[44:47], v37, s[12:15], 0 offen       // 0000000060C8: E05C1000 80832C25
	s_add_u32 s12, s78, s12                                    // 0000000060D0: 800C0C4E
	s_addc_u32 s13, 0, s13                                     // 0000000060D4: 820D0D80
	v_mfma_i32_16x16x32_i8 v[168:171], a[14:15], v[130:131], v[168:171]// 0000000060D8: D3D700A8 0EA3050E
	v_mfma_i32_16x16x32_i8 v[172:175], a[12:13], v[136:137], 0 // 0000000060E0: D3D700AC 0A03110C
	v_mfma_i32_16x16x32_i8 v[172:175], a[14:15], v[138:139], v[172:175]// 0000000060E8: D3D700AC 0EB3150E
	s_waitcnt vmcnt(20)                                        // 0000000060F0: BF8C4F74
	v_mfma_i32_16x16x32_i8 v[144:147], a[16:17], v[132:133], v[144:147]// 0000000060F4: D3D70090 0E430910
	buffer_load_dwordx4 a[48:51], v34, s[12:15], 0 offen       // 0000000060FC: E05C1000 80833022
	v_mfma_i32_16x16x32_i8 v[144:147], a[18:19], v[134:135], v[144:147]// 000000006104: D3D70090 0E430D12
	v_mfma_i32_16x16x32_i8 v[148:151], a[16:17], v[140:141], v[148:151]// 00000000610C: D3D70094 0E531910
	buffer_load_dword v12, v5, s[16:19], 0 offen               // 000000006114: E0501000 80040C05
	v_mfma_i32_16x16x32_i8 v[148:151], a[18:19], v[142:143], v[148:151]// 00000000611C: D3D70094 0E531D12
	v_mfma_i32_16x16x32_i8 v[152:155], a[20:21], v[132:133], v[152:155]// 000000006124: D3D70098 0E630914
	buffer_load_dwordx4 a[52:55], v35, s[12:15], 0 offen       // 00000000612C: E05C1000 80833423
	v_mfma_i32_16x16x32_i8 v[152:155], a[22:23], v[134:135], v[152:155]// 000000006134: D3D70098 0E630D16
	v_mfma_i32_16x16x32_i8 v[156:159], a[20:21], v[140:141], v[156:159]// 00000000613C: D3D7009C 0E731914
	v_mfma_i32_16x16x32_i8 v[156:159], a[22:23], v[142:143], v[156:159]// 000000006144: D3D7009C 0E731D16
	v_mfma_i32_16x16x32_i8 v[160:163], a[24:25], v[132:133], v[160:163]// 00000000614C: D3D700A0 0E830918
	buffer_load_dwordx4 a[56:59], v36, s[12:15], 0 offen       // 000000006154: E05C1000 80833824
	v_mfma_i32_16x16x32_i8 v[160:163], a[26:27], v[134:135], v[160:163]// 00000000615C: D3D700A0 0E830D1A
	v_mfma_i32_16x16x32_i8 v[164:167], a[24:25], v[140:141], v[164:167]// 000000006164: D3D700A4 0E931918
	v_mfma_i32_16x16x32_i8 v[164:167], a[26:27], v[142:143], v[164:167]// 00000000616C: D3D700A4 0E931D1A
	v_mfma_i32_16x16x32_i8 v[168:171], a[28:29], v[132:133], v[168:171]// 000000006174: D3D700A8 0EA3091C
	buffer_load_dwordx4 a[60:63], v37, s[12:15], 0 offen       // 00000000617C: E05C1000 80833C25
	v_mfma_i32_16x16x32_i8 v[168:171], a[30:31], v[134:135], v[168:171]// 000000006184: D3D700A8 0EA30D1E
	v_mfma_i32_16x16x32_i8 v[172:175], a[28:29], v[140:141], v[172:175]// 00000000618C: D3D700AC 0EB3191C
	v_mfma_i32_16x16x32_i8 v[172:175], a[30:31], v[142:143], v[172:175]// 000000006194: D3D700AC 0EB31D1E
	s_add_u32 s60, 0x200, s80                                  // 00000000619C: 803C50FF 00000200
	s_cmp_lt_u32 s60, s81                                      // 0000000061A4: BF0A513C
	s_cselect_b32 s56, s56, 0                                  // 0000000061A8: 85388038
	s_cselect_b32 s78, s78, 0                                  // 0000000061AC: 854E804E
	s_cselect_b32 s79, s79, 0                                  // 0000000061B0: 854F804F
	s_add_u32 s12, s56, s12                                    // 0000000061B4: 800C0C38
	s_addc_u32 s13, 0, s13                                     // 0000000061B8: 820D0D80
	s_add_u32 s16, s79, s16                                    // 0000000061BC: 8010104F
	s_addc_u32 s17, 0, s17                                     // 0000000061C0: 82111180
	v_cvt_f32_i32_e32 v144, v144                               // 0000000061C4: 7F200B90
	v_cvt_f32_i32_e32 v145, v145                               // 0000000061C8: 7F220B91
	v_cvt_f32_i32_e32 v146, v146                               // 0000000061CC: 7F240B92
	v_cvt_f32_i32_e32 v147, v147                               // 0000000061D0: 7F260B93
	v_mul_f32_e32 v144, v22, v144                              // 0000000061D4: 0B212116
	v_mul_f32_e32 v145, v22, v145                              // 0000000061D8: 0B232316
	v_mul_f32_e32 v146, v22, v146                              // 0000000061DC: 0B252516
	v_mul_f32_e32 v147, v22, v147                              // 0000000061E0: 0B272716
	v_mul_f32_dpp v144, v11, v144 row_newbcast:0 row_mask:0xf bank_mask:0xf// 0000000061E4: 0B2120FA FF01500B
	v_mul_f32_dpp v145, v11, v145 row_newbcast:1 row_mask:0xf bank_mask:0xf// 0000000061EC: 0B2322FA FF01510B
	v_mul_f32_dpp v146, v11, v146 row_newbcast:2 row_mask:0xf bank_mask:0xf// 0000000061F4: 0B2524FA FF01520B
	v_mul_f32_dpp v147, v11, v147 row_newbcast:3 row_mask:0xf bank_mask:0xf// 0000000061FC: 0B2726FA FF01530B
	v_mul_f32_e32 v144, v17, v144                              // 000000006204: 0B212111
	v_mul_f32_e32 v145, v17, v145                              // 000000006208: 0B232311
	v_mul_f32_e32 v146, v17, v146                              // 00000000620C: 0B252511
	v_mul_f32_e32 v147, v17, v147                              // 000000006210: 0B272711
	v_cvt_f32_i32_e32 v148, v148                               // 000000006214: 7F280B94
	v_cvt_f32_i32_e32 v149, v149                               // 000000006218: 7F2A0B95
	v_cvt_f32_i32_e32 v150, v150                               // 00000000621C: 7F2C0B96
	v_cvt_f32_i32_e32 v151, v151                               // 000000006220: 7F2E0B97
	v_mul_f32_e32 v148, v23, v148                              // 000000006224: 0B292917
	v_mul_f32_e32 v149, v23, v149                              // 000000006228: 0B2B2B17
	v_mul_f32_e32 v150, v23, v150                              // 00000000622C: 0B2D2D17
	v_mul_f32_e32 v151, v23, v151                              // 000000006230: 0B2F2F17
	v_mul_f32_dpp v148, v11, v148 row_newbcast:0 row_mask:0xf bank_mask:0xf// 000000006234: 0B2928FA FF01500B
	v_mul_f32_dpp v149, v11, v149 row_newbcast:1 row_mask:0xf bank_mask:0xf// 00000000623C: 0B2B2AFA FF01510B
	v_mul_f32_dpp v150, v11, v150 row_newbcast:2 row_mask:0xf bank_mask:0xf// 000000006244: 0B2D2CFA FF01520B
	v_mul_f32_dpp v151, v11, v151 row_newbcast:3 row_mask:0xf bank_mask:0xf// 00000000624C: 0B2F2EFA FF01530B
	v_mul_f32_e32 v148, v18, v148                              // 000000006254: 0B292912
	v_mul_f32_e32 v149, v18, v149                              // 000000006258: 0B2B2B12
	v_mul_f32_e32 v150, v18, v150                              // 00000000625C: 0B2D2D12
	v_mul_f32_e32 v151, v18, v151                              // 000000006260: 0B2F2F12
	v_cvt_f32_i32_e32 v152, v152                               // 000000006264: 7F300B98
	v_cvt_f32_i32_e32 v153, v153                               // 000000006268: 7F320B99
	v_cvt_f32_i32_e32 v154, v154                               // 00000000626C: 7F340B9A
	v_cvt_f32_i32_e32 v155, v155                               // 000000006270: 7F360B9B
	v_mul_f32_e32 v152, v22, v152                              // 000000006274: 0B313116
	v_mul_f32_e32 v153, v22, v153                              // 000000006278: 0B333316
	v_mul_f32_e32 v154, v22, v154                              // 00000000627C: 0B353516
	v_mul_f32_e32 v155, v22, v155                              // 000000006280: 0B373716
	v_mul_f32_dpp v152, v11, v152 row_newbcast:4 row_mask:0xf bank_mask:0xf// 000000006284: 0B3130FA FF01540B
	v_mul_f32_dpp v153, v11, v153 row_newbcast:5 row_mask:0xf bank_mask:0xf// 00000000628C: 0B3332FA FF01550B
	v_mul_f32_dpp v154, v11, v154 row_newbcast:6 row_mask:0xf bank_mask:0xf// 000000006294: 0B3534FA FF01560B
	v_mul_f32_dpp v155, v11, v155 row_newbcast:7 row_mask:0xf bank_mask:0xf// 00000000629C: 0B3736FA FF01570B
	v_mul_f32_e32 v152, v17, v152                              // 0000000062A4: 0B313111
	v_mul_f32_e32 v153, v17, v153                              // 0000000062A8: 0B333311
	v_mul_f32_e32 v154, v17, v154                              // 0000000062AC: 0B353511
	v_mul_f32_e32 v155, v17, v155                              // 0000000062B0: 0B373711
	v_cvt_f32_i32_e32 v156, v156                               // 0000000062B4: 7F380B9C
	v_cvt_f32_i32_e32 v157, v157                               // 0000000062B8: 7F3A0B9D
	v_cvt_f32_i32_e32 v158, v158                               // 0000000062BC: 7F3C0B9E
	v_cvt_f32_i32_e32 v159, v159                               // 0000000062C0: 7F3E0B9F
	v_mul_f32_e32 v156, v23, v156                              // 0000000062C4: 0B393917
	v_mul_f32_e32 v157, v23, v157                              // 0000000062C8: 0B3B3B17
	v_mul_f32_e32 v158, v23, v158                              // 0000000062CC: 0B3D3D17
	v_mul_f32_e32 v159, v23, v159                              // 0000000062D0: 0B3F3F17
	v_mul_f32_dpp v156, v11, v156 row_newbcast:4 row_mask:0xf bank_mask:0xf// 0000000062D4: 0B3938FA FF01540B
	v_mul_f32_dpp v157, v11, v157 row_newbcast:5 row_mask:0xf bank_mask:0xf// 0000000062DC: 0B3B3AFA FF01550B
	v_mul_f32_dpp v158, v11, v158 row_newbcast:6 row_mask:0xf bank_mask:0xf// 0000000062E4: 0B3D3CFA FF01560B
	v_mul_f32_dpp v159, v11, v159 row_newbcast:7 row_mask:0xf bank_mask:0xf// 0000000062EC: 0B3F3EFA FF01570B
	v_mul_f32_e32 v156, v18, v156                              // 0000000062F4: 0B393912
	v_mul_f32_e32 v157, v18, v157                              // 0000000062F8: 0B3B3B12
	v_mul_f32_e32 v158, v18, v158                              // 0000000062FC: 0B3D3D12
	v_mul_f32_e32 v159, v18, v159                              // 000000006300: 0B3F3F12
	v_cvt_f32_i32_e32 v160, v160                               // 000000006304: 7F400BA0
	v_cvt_f32_i32_e32 v161, v161                               // 000000006308: 7F420BA1
	v_cvt_f32_i32_e32 v162, v162                               // 00000000630C: 7F440BA2
	v_cvt_f32_i32_e32 v163, v163                               // 000000006310: 7F460BA3
	v_mul_f32_e32 v160, v22, v160                              // 000000006314: 0B414116
	v_mul_f32_e32 v161, v22, v161                              // 000000006318: 0B434316
	v_mul_f32_e32 v162, v22, v162                              // 00000000631C: 0B454516
	v_mul_f32_e32 v163, v22, v163                              // 000000006320: 0B474716
	v_mul_f32_dpp v160, v11, v160 row_newbcast:8 row_mask:0xf bank_mask:0xf// 000000006324: 0B4140FA FF01580B
	v_mul_f32_dpp v161, v11, v161 row_newbcast:9 row_mask:0xf bank_mask:0xf// 00000000632C: 0B4342FA FF01590B
	v_mul_f32_dpp v162, v11, v162 row_newbcast:10 row_mask:0xf bank_mask:0xf// 000000006334: 0B4544FA FF015A0B
	v_mul_f32_dpp v163, v11, v163 row_newbcast:11 row_mask:0xf bank_mask:0xf// 00000000633C: 0B4746FA FF015B0B
	v_mul_f32_e32 v160, v17, v160                              // 000000006344: 0B414111
	v_mul_f32_e32 v161, v17, v161                              // 000000006348: 0B434311
	v_mul_f32_e32 v162, v17, v162                              // 00000000634C: 0B454511
	v_mul_f32_e32 v163, v17, v163                              // 000000006350: 0B474711
	v_cvt_f32_i32_e32 v164, v164                               // 000000006354: 7F480BA4
	v_cvt_f32_i32_e32 v165, v165                               // 000000006358: 7F4A0BA5
	v_cvt_f32_i32_e32 v166, v166                               // 00000000635C: 7F4C0BA6
	v_cvt_f32_i32_e32 v167, v167                               // 000000006360: 7F4E0BA7
	v_mul_f32_e32 v164, v23, v164                              // 000000006364: 0B494917
	v_mul_f32_e32 v165, v23, v165                              // 000000006368: 0B4B4B17
	v_mul_f32_e32 v166, v23, v166                              // 00000000636C: 0B4D4D17
	v_mul_f32_e32 v167, v23, v167                              // 000000006370: 0B4F4F17
	v_mul_f32_dpp v164, v11, v164 row_newbcast:8 row_mask:0xf bank_mask:0xf// 000000006374: 0B4948FA FF01580B
	v_mul_f32_dpp v165, v11, v165 row_newbcast:9 row_mask:0xf bank_mask:0xf// 00000000637C: 0B4B4AFA FF01590B
	v_mul_f32_dpp v166, v11, v166 row_newbcast:10 row_mask:0xf bank_mask:0xf// 000000006384: 0B4D4CFA FF015A0B
	v_mul_f32_dpp v167, v11, v167 row_newbcast:11 row_mask:0xf bank_mask:0xf// 00000000638C: 0B4F4EFA FF015B0B
	v_mul_f32_e32 v164, v18, v164                              // 000000006394: 0B494912
	v_mul_f32_e32 v165, v18, v165                              // 000000006398: 0B4B4B12
	v_mul_f32_e32 v166, v18, v166                              // 00000000639C: 0B4D4D12
	v_mul_f32_e32 v167, v18, v167                              // 0000000063A0: 0B4F4F12
	v_cvt_f32_i32_e32 v168, v168                               // 0000000063A4: 7F500BA8
	v_cvt_f32_i32_e32 v169, v169                               // 0000000063A8: 7F520BA9
	v_cvt_f32_i32_e32 v170, v170                               // 0000000063AC: 7F540BAA
	v_cvt_f32_i32_e32 v171, v171                               // 0000000063B0: 7F560BAB
	v_mul_f32_e32 v168, v22, v168                              // 0000000063B4: 0B515116
	v_mul_f32_e32 v169, v22, v169                              // 0000000063B8: 0B535316
	v_mul_f32_e32 v170, v22, v170                              // 0000000063BC: 0B555516
	v_mul_f32_e32 v171, v22, v171                              // 0000000063C0: 0B575716
	v_mul_f32_dpp v168, v11, v168 row_newbcast:12 row_mask:0xf bank_mask:0xf// 0000000063C4: 0B5150FA FF015C0B
	v_mul_f32_dpp v169, v11, v169 row_newbcast:13 row_mask:0xf bank_mask:0xf// 0000000063CC: 0B5352FA FF015D0B
	v_mul_f32_dpp v170, v11, v170 row_newbcast:14 row_mask:0xf bank_mask:0xf// 0000000063D4: 0B5554FA FF015E0B
	v_mul_f32_dpp v171, v11, v171 row_newbcast:15 row_mask:0xf bank_mask:0xf// 0000000063DC: 0B5756FA FF015F0B
	v_mul_f32_e32 v168, v17, v168                              // 0000000063E4: 0B515111
	v_mul_f32_e32 v169, v17, v169                              // 0000000063E8: 0B535311
	v_mul_f32_e32 v170, v17, v170                              // 0000000063EC: 0B555511
	v_mul_f32_e32 v171, v17, v171                              // 0000000063F0: 0B575711
	v_cvt_f32_i32_e32 v172, v172                               // 0000000063F4: 7F580BAC
	v_cvt_f32_i32_e32 v173, v173                               // 0000000063F8: 7F5A0BAD
	v_cvt_f32_i32_e32 v174, v174                               // 0000000063FC: 7F5C0BAE
	v_cvt_f32_i32_e32 v175, v175                               // 000000006400: 7F5E0BAF
	v_mul_f32_e32 v172, v23, v172                              // 000000006404: 0B595917
	v_mul_f32_e32 v173, v23, v173                              // 000000006408: 0B5B5B17
	v_mul_f32_e32 v174, v23, v174                              // 00000000640C: 0B5D5D17
	v_mul_f32_e32 v175, v23, v175                              // 000000006410: 0B5F5F17
	v_mul_f32_dpp v172, v11, v172 row_newbcast:12 row_mask:0xf bank_mask:0xf// 000000006414: 0B5958FA FF015C0B
	v_mul_f32_dpp v173, v11, v173 row_newbcast:13 row_mask:0xf bank_mask:0xf// 00000000641C: 0B5B5AFA FF015D0B
	v_mul_f32_dpp v174, v11, v174 row_newbcast:14 row_mask:0xf bank_mask:0xf// 000000006424: 0B5D5CFA FF015E0B
	v_mul_f32_dpp v175, v11, v175 row_newbcast:15 row_mask:0xf bank_mask:0xf// 00000000642C: 0B5F5EFA FF015F0B
	v_mul_f32_e32 v172, v18, v172                              // 000000006434: 0B595912
	v_mul_f32_e32 v173, v18, v173                              // 000000006438: 0B5B5B12
	v_mul_f32_e32 v174, v18, v174                              // 00000000643C: 0B5D5D12
	v_mul_f32_e32 v175, v18, v175                              // 000000006440: 0B5F5F12
	v_cmp_u_f32_e64 s[48:49], v144, v144                       // 000000006444: D0480030 00032190
	v_add3_u32 v38, v144, v41, 1                               // 00000000644C: D1FF0026 02065390
	v_cndmask_b32_e64 v42, v38, v40, s[48:49]                  // 000000006454: D100002A 00C25126
	v_cmp_u_f32_e64 s[48:49], v145, v145                       // 00000000645C: D0480030 00032391
	v_add3_u32 v38, v145, v41, 1                               // 000000006464: D1FF0026 02065391
	v_cndmask_b32_e64 v43, v38, v40, s[48:49]                  // 00000000646C: D100002B 00C25126
	v_perm_b32 v144, v43, v42, s52                             // 000000006474: D1ED0090 00D2552B
	v_cmp_u_f32_e64 s[48:49], v146, v146                       // 00000000647C: D0480030 00032592
	v_add3_u32 v38, v146, v41, 1                               // 000000006484: D1FF0026 02065392
	v_cndmask_b32_e64 v42, v38, v40, s[48:49]                  // 00000000648C: D100002A 00C25126
	v_cmp_u_f32_e64 s[48:49], v147, v147                       // 000000006494: D0480030 00032793
	v_add3_u32 v38, v147, v41, 1                               // 00000000649C: D1FF0026 02065393
	v_cndmask_b32_e64 v43, v38, v40, s[48:49]                  // 0000000064A4: D100002B 00C25126
	v_perm_b32 v145, v43, v42, s52                             // 0000000064AC: D1ED0091 00D2552B
	v_cmp_u_f32_e64 s[48:49], v148, v148                       // 0000000064B4: D0480030 00032994
	v_add3_u32 v38, v148, v41, 1                               // 0000000064BC: D1FF0026 02065394
	v_cndmask_b32_e64 v42, v38, v40, s[48:49]                  // 0000000064C4: D100002A 00C25126
	v_cmp_u_f32_e64 s[48:49], v149, v149                       // 0000000064CC: D0480030 00032B95
	v_add3_u32 v38, v149, v41, 1                               // 0000000064D4: D1FF0026 02065395
	v_cndmask_b32_e64 v43, v38, v40, s[48:49]                  // 0000000064DC: D100002B 00C25126
	v_perm_b32 v146, v43, v42, s52                             // 0000000064E4: D1ED0092 00D2552B
	v_cmp_u_f32_e64 s[48:49], v150, v150                       // 0000000064EC: D0480030 00032D96
	v_add3_u32 v38, v150, v41, 1                               // 0000000064F4: D1FF0026 02065396
	v_cndmask_b32_e64 v42, v38, v40, s[48:49]                  // 0000000064FC: D100002A 00C25126
	v_cmp_u_f32_e64 s[48:49], v151, v151                       // 000000006504: D0480030 00032F97
	v_add3_u32 v38, v151, v41, 1                               // 00000000650C: D1FF0026 02065397
	v_cndmask_b32_e64 v43, v38, v40, s[48:49]                  // 000000006514: D100002B 00C25126
	v_perm_b32 v147, v43, v42, s52                             // 00000000651C: D1ED0093 00D2552B
	v_cmp_u_f32_e64 s[48:49], v152, v152                       // 000000006524: D0480030 00033198
	v_add3_u32 v38, v152, v41, 1                               // 00000000652C: D1FF0026 02065398
	v_cndmask_b32_e64 v42, v38, v40, s[48:49]                  // 000000006534: D100002A 00C25126
	v_cmp_u_f32_e64 s[48:49], v153, v153                       // 00000000653C: D0480030 00033399
	v_add3_u32 v38, v153, v41, 1                               // 000000006544: D1FF0026 02065399
	v_cndmask_b32_e64 v43, v38, v40, s[48:49]                  // 00000000654C: D100002B 00C25126
	v_perm_b32 v148, v43, v42, s52                             // 000000006554: D1ED0094 00D2552B
	v_cmp_u_f32_e64 s[48:49], v154, v154                       // 00000000655C: D0480030 0003359A
	v_add3_u32 v38, v154, v41, 1                               // 000000006564: D1FF0026 0206539A
	v_cndmask_b32_e64 v42, v38, v40, s[48:49]                  // 00000000656C: D100002A 00C25126
	v_cmp_u_f32_e64 s[48:49], v155, v155                       // 000000006574: D0480030 0003379B
	v_add3_u32 v38, v155, v41, 1                               // 00000000657C: D1FF0026 0206539B
	v_cndmask_b32_e64 v43, v38, v40, s[48:49]                  // 000000006584: D100002B 00C25126
	v_perm_b32 v149, v43, v42, s52                             // 00000000658C: D1ED0095 00D2552B
	v_cmp_u_f32_e64 s[48:49], v156, v156                       // 000000006594: D0480030 0003399C
	v_add3_u32 v38, v156, v41, 1                               // 00000000659C: D1FF0026 0206539C
	v_cndmask_b32_e64 v42, v38, v40, s[48:49]                  // 0000000065A4: D100002A 00C25126
	v_cmp_u_f32_e64 s[48:49], v157, v157                       // 0000000065AC: D0480030 00033B9D
	v_add3_u32 v38, v157, v41, 1                               // 0000000065B4: D1FF0026 0206539D
	v_cndmask_b32_e64 v43, v38, v40, s[48:49]                  // 0000000065BC: D100002B 00C25126
	v_perm_b32 v150, v43, v42, s52                             // 0000000065C4: D1ED0096 00D2552B
	v_cmp_u_f32_e64 s[48:49], v158, v158                       // 0000000065CC: D0480030 00033D9E
	v_add3_u32 v38, v158, v41, 1                               // 0000000065D4: D1FF0026 0206539E
	v_cndmask_b32_e64 v42, v38, v40, s[48:49]                  // 0000000065DC: D100002A 00C25126
	v_cmp_u_f32_e64 s[48:49], v159, v159                       // 0000000065E4: D0480030 00033F9F
	v_add3_u32 v38, v159, v41, 1                               // 0000000065EC: D1FF0026 0206539F
	v_cndmask_b32_e64 v43, v38, v40, s[48:49]                  // 0000000065F4: D100002B 00C25126
	v_perm_b32 v151, v43, v42, s52                             // 0000000065FC: D1ED0097 00D2552B
	v_cmp_u_f32_e64 s[48:49], v160, v160                       // 000000006604: D0480030 000341A0
	v_add3_u32 v38, v160, v41, 1                               // 00000000660C: D1FF0026 020653A0
	v_cndmask_b32_e64 v42, v38, v40, s[48:49]                  // 000000006614: D100002A 00C25126
	v_cmp_u_f32_e64 s[48:49], v161, v161                       // 00000000661C: D0480030 000343A1
	v_add3_u32 v38, v161, v41, 1                               // 000000006624: D1FF0026 020653A1
	v_cndmask_b32_e64 v43, v38, v40, s[48:49]                  // 00000000662C: D100002B 00C25126
	v_perm_b32 v152, v43, v42, s52                             // 000000006634: D1ED0098 00D2552B
	v_cmp_u_f32_e64 s[48:49], v162, v162                       // 00000000663C: D0480030 000345A2
	v_add3_u32 v38, v162, v41, 1                               // 000000006644: D1FF0026 020653A2
	v_cndmask_b32_e64 v42, v38, v40, s[48:49]                  // 00000000664C: D100002A 00C25126
	v_cmp_u_f32_e64 s[48:49], v163, v163                       // 000000006654: D0480030 000347A3
	v_add3_u32 v38, v163, v41, 1                               // 00000000665C: D1FF0026 020653A3
	v_cndmask_b32_e64 v43, v38, v40, s[48:49]                  // 000000006664: D100002B 00C25126
	v_perm_b32 v153, v43, v42, s52                             // 00000000666C: D1ED0099 00D2552B
	v_cmp_u_f32_e64 s[48:49], v164, v164                       // 000000006674: D0480030 000349A4
	v_add3_u32 v38, v164, v41, 1                               // 00000000667C: D1FF0026 020653A4
	v_cndmask_b32_e64 v42, v38, v40, s[48:49]                  // 000000006684: D100002A 00C25126
	v_cmp_u_f32_e64 s[48:49], v165, v165                       // 00000000668C: D0480030 00034BA5
	v_add3_u32 v38, v165, v41, 1                               // 000000006694: D1FF0026 020653A5
	v_cndmask_b32_e64 v43, v38, v40, s[48:49]                  // 00000000669C: D100002B 00C25126
	v_perm_b32 v154, v43, v42, s52                             // 0000000066A4: D1ED009A 00D2552B
	v_cmp_u_f32_e64 s[48:49], v166, v166                       // 0000000066AC: D0480030 00034DA6
	v_add3_u32 v38, v166, v41, 1                               // 0000000066B4: D1FF0026 020653A6
	v_cndmask_b32_e64 v42, v38, v40, s[48:49]                  // 0000000066BC: D100002A 00C25126
	v_cmp_u_f32_e64 s[48:49], v167, v167                       // 0000000066C4: D0480030 00034FA7
	v_add3_u32 v38, v167, v41, 1                               // 0000000066CC: D1FF0026 020653A7
	v_cndmask_b32_e64 v43, v38, v40, s[48:49]                  // 0000000066D4: D100002B 00C25126
	v_perm_b32 v155, v43, v42, s52                             // 0000000066DC: D1ED009B 00D2552B
	v_cmp_u_f32_e64 s[48:49], v168, v168                       // 0000000066E4: D0480030 000351A8
	v_add3_u32 v38, v168, v41, 1                               // 0000000066EC: D1FF0026 020653A8
	v_cndmask_b32_e64 v42, v38, v40, s[48:49]                  // 0000000066F4: D100002A 00C25126
	v_cmp_u_f32_e64 s[48:49], v169, v169                       // 0000000066FC: D0480030 000353A9
	v_add3_u32 v38, v169, v41, 1                               // 000000006704: D1FF0026 020653A9
	v_cndmask_b32_e64 v43, v38, v40, s[48:49]                  // 00000000670C: D100002B 00C25126
	v_perm_b32 v156, v43, v42, s52                             // 000000006714: D1ED009C 00D2552B
	v_cmp_u_f32_e64 s[48:49], v170, v170                       // 00000000671C: D0480030 000355AA
	v_add3_u32 v38, v170, v41, 1                               // 000000006724: D1FF0026 020653AA
	v_cndmask_b32_e64 v42, v38, v40, s[48:49]                  // 00000000672C: D100002A 00C25126
	v_cmp_u_f32_e64 s[48:49], v171, v171                       // 000000006734: D0480030 000357AB
	v_add3_u32 v38, v171, v41, 1                               // 00000000673C: D1FF0026 020653AB
	v_cndmask_b32_e64 v43, v38, v40, s[48:49]                  // 000000006744: D100002B 00C25126
	v_perm_b32 v157, v43, v42, s52                             // 00000000674C: D1ED009D 00D2552B
	v_cmp_u_f32_e64 s[48:49], v172, v172                       // 000000006754: D0480030 000359AC
	v_add3_u32 v38, v172, v41, 1                               // 00000000675C: D1FF0026 020653AC
	v_cndmask_b32_e64 v42, v38, v40, s[48:49]                  // 000000006764: D100002A 00C25126
	v_cmp_u_f32_e64 s[48:49], v173, v173                       // 00000000676C: D0480030 00035BAD
	v_add3_u32 v38, v173, v41, 1                               // 000000006774: D1FF0026 020653AD
	v_cndmask_b32_e64 v43, v38, v40, s[48:49]                  // 00000000677C: D100002B 00C25126
	v_perm_b32 v158, v43, v42, s52                             // 000000006784: D1ED009E 00D2552B
	v_cmp_u_f32_e64 s[48:49], v174, v174                       // 00000000678C: D0480030 00035DAE
	v_add3_u32 v38, v174, v41, 1                               // 000000006794: D1FF0026 020653AE
	v_cndmask_b32_e64 v42, v38, v40, s[48:49]                  // 00000000679C: D100002A 00C25126
	v_cmp_u_f32_e64 s[48:49], v175, v175                       // 0000000067A4: D0480030 00035FAF
	v_add3_u32 v38, v175, v41, 1                               // 0000000067AC: D1FF0026 020653AF
	v_cndmask_b32_e64 v43, v38, v40, s[48:49]                  // 0000000067B4: D100002B 00C25126
	v_perm_b32 v159, v43, v42, s52                             // 0000000067BC: D1ED009F 00D2552B
	ds_write_b64 v3, v[144:145] offset:22784                   // 0000000067C4: D89A5900 00009003
	ds_write_b64 v3, v[146:147] offset:31488                   // 0000000067CC: D89A7B00 00009203
	ds_write_b64 v3, v[148:149] offset:24960                   // 0000000067D4: D89A6180 00009403
	ds_write_b64 v3, v[150:151] offset:33664                   // 0000000067DC: D89A8380 00009603
	ds_write_b64 v3, v[152:153] offset:27136                   // 0000000067E4: D89A6A00 00009803
	ds_write_b64 v3, v[154:155] offset:35840                   // 0000000067EC: D89A8C00 00009A03
	ds_write_b64 v3, v[156:157] offset:29312                   // 0000000067F4: D89A7280 00009C03
	ds_write_b64 v3, v[158:159] offset:38016                   // 0000000067FC: D89A9480 00009E03
	s_waitcnt lgkmcnt(0)                                       // 000000006804: BF8CC07F
	s_barrier                                                  // 000000006808: BF8A0000
	ds_read_b32 v64, v4 offset:22784                           // 00000000680C: D86C5900 40000004
	ds_read_b32 v65, v4 offset:27136                           // 000000006814: D86C6A00 41000004
	ds_read_b32 v66, v4 offset:22816                           // 00000000681C: D86C5920 42000004
	ds_read_b32 v67, v4 offset:27168                           // 000000006824: D86C6A20 43000004
	ds_read_b32 v68, v4 offset:22848                           // 00000000682C: D86C5940 44000004
	ds_read_b32 v69, v4 offset:27200                           // 000000006834: D86C6A40 45000004
	ds_read_b32 v70, v4 offset:22880                           // 00000000683C: D86C5960 46000004
	ds_read_b32 v71, v4 offset:27232                           // 000000006844: D86C6A60 47000004
	ds_read_b32 v72, v4 offset:31488                           // 00000000684C: D86C7B00 48000004
	ds_read_b32 v73, v4 offset:35840                           // 000000006854: D86C8C00 49000004
	ds_read_b32 v74, v4 offset:31520                           // 00000000685C: D86C7B20 4A000004
	ds_read_b32 v75, v4 offset:35872                           // 000000006864: D86C8C20 4B000004
	ds_read_b32 v76, v4 offset:31552                           // 00000000686C: D86C7B40 4C000004
	ds_read_b32 v77, v4 offset:35904                           // 000000006874: D86C8C40 4D000004
	ds_read_b32 v78, v4 offset:31584                           // 00000000687C: D86C7B60 4E000004
	ds_read_b32 v79, v4 offset:35936                           // 000000006884: D86C8C60 4F000004
	s_waitcnt lgkmcnt(0)                                       // 00000000688C: BF8CC07F
	s_mov_b64 exec, s[20:21]                                   // 000000006890: BEFE0114
	global_atomic_pk_add_bf16 v80, v64, s[8:9]                 // 000000006894: DD488000 00084050
	s_mov_b64 exec, s[36:37]                                   // 00000000689C: BEFE0124
	s_mov_b64 exec, s[20:21]                                   // 0000000068A0: BEFE0114
	global_atomic_pk_add_bf16 v80, v65, s[8:9] offset:256      // 0000000068A4: DD488100 00084150
	s_mov_b64 exec, s[36:37]                                   // 0000000068AC: BEFE0124
	s_mov_b64 exec, s[22:23]                                   // 0000000068B0: BEFE0116
	global_atomic_pk_add_bf16 v82, v66, s[8:9]                 // 0000000068B4: DD488000 00084252
	s_mov_b64 exec, s[36:37]                                   // 0000000068BC: BEFE0124
	s_mov_b64 exec, s[22:23]                                   // 0000000068C0: BEFE0116
	global_atomic_pk_add_bf16 v82, v67, s[8:9] offset:256      // 0000000068C4: DD488100 00084352
	s_mov_b64 exec, s[36:37]                                   // 0000000068CC: BEFE0124
	s_mov_b64 exec, s[24:25]                                   // 0000000068D0: BEFE0118
	global_atomic_pk_add_bf16 v84, v68, s[8:9]                 // 0000000068D4: DD488000 00084454
	s_mov_b64 exec, s[36:37]                                   // 0000000068DC: BEFE0124
	s_mov_b64 exec, s[24:25]                                   // 0000000068E0: BEFE0118
	global_atomic_pk_add_bf16 v84, v69, s[8:9] offset:256      // 0000000068E4: DD488100 00084554
	s_mov_b64 exec, s[36:37]                                   // 0000000068EC: BEFE0124
	s_mov_b64 exec, s[26:27]                                   // 0000000068F0: BEFE011A
	global_atomic_pk_add_bf16 v86, v70, s[8:9]                 // 0000000068F4: DD488000 00084656
	s_mov_b64 exec, s[36:37]                                   // 0000000068FC: BEFE0124
	s_mov_b64 exec, s[26:27]                                   // 000000006900: BEFE011A
	global_atomic_pk_add_bf16 v86, v71, s[8:9] offset:256      // 000000006904: DD488100 00084756
	s_mov_b64 exec, s[36:37]                                   // 00000000690C: BEFE0124
	s_mov_b64 exec, s[28:29]                                   // 000000006910: BEFE011C
	global_atomic_pk_add_bf16 v88, v72, s[8:9]                 // 000000006914: DD488000 00084858
	s_mov_b64 exec, s[36:37]                                   // 00000000691C: BEFE0124
	s_mov_b64 exec, s[28:29]                                   // 000000006920: BEFE011C
	global_atomic_pk_add_bf16 v88, v73, s[8:9] offset:256      // 000000006924: DD488100 00084958
	s_mov_b64 exec, s[36:37]                                   // 00000000692C: BEFE0124
	s_mov_b64 exec, s[30:31]                                   // 000000006930: BEFE011E
	global_atomic_pk_add_bf16 v90, v74, s[8:9]                 // 000000006934: DD488000 00084A5A
	s_mov_b64 exec, s[36:37]                                   // 00000000693C: BEFE0124
	s_mov_b64 exec, s[30:31]                                   // 000000006940: BEFE011E
	global_atomic_pk_add_bf16 v90, v75, s[8:9] offset:256      // 000000006944: DD488100 00084B5A
	s_mov_b64 exec, s[36:37]                                   // 00000000694C: BEFE0124
	s_mov_b64 exec, s[32:33]                                   // 000000006950: BEFE0120
	global_atomic_pk_add_bf16 v92, v76, s[8:9]                 // 000000006954: DD488000 00084C5C
	s_mov_b64 exec, s[36:37]                                   // 00000000695C: BEFE0124
	s_mov_b64 exec, s[32:33]                                   // 000000006960: BEFE0120
	global_atomic_pk_add_bf16 v92, v77, s[8:9] offset:256      // 000000006964: DD488100 00084D5C
	s_mov_b64 exec, s[36:37]                                   // 00000000696C: BEFE0124
	s_mov_b64 exec, s[34:35]                                   // 000000006970: BEFE0122
	global_atomic_pk_add_bf16 v94, v78, s[8:9]                 // 000000006974: DD488000 00084E5E
	s_mov_b64 exec, s[36:37]                                   // 00000000697C: BEFE0124
	s_mov_b64 exec, s[34:35]                                   // 000000006980: BEFE0122
	global_atomic_pk_add_bf16 v94, v79, s[8:9] offset:256      // 000000006984: DD488100 00084F5E
	s_mov_b64 exec, s[36:37]                                   // 00000000698C: BEFE0124
	s_add_u32 s8, s59, s8                                      // 000000006990: 8008083B
	s_addc_u32 s9, 0, s9                                       // 000000006994: 82090980
	s_addk_i32 s80, 0x100                                      // 000000006998: B7500100
	s_cmp_lt_i32 s80, s81                                      // 00000000699C: BF045150
	s_cbranch_scc0 label_0A21                                  // 0000000069A0: BF84FA78
	s_waitcnt vmcnt(21)                                        // 0000000069A4: BF8C4F75
	s_barrier                                                  // 0000000069A8: BF8A0000
	v_mfma_i32_16x16x32_i8 v[176:179], a[32:33], v[128:129], 0 // 0000000069AC: D3D700B0 0A030120
	buffer_load_dwordx4 a[0:3], v34, s[12:15], 0 offen         // 0000000069B4: E05C1000 80830022
	v_mfma_i32_16x16x32_i8 v[176:179], a[34:35], v[130:131], v[176:179]// 0000000069BC: D3D700B0 0EC30522
	v_mfma_i32_16x16x32_i8 v[180:183], a[32:33], v[136:137], 0 // 0000000069C4: D3D700B4 0A031120
	v_mfma_i32_16x16x32_i8 v[180:183], a[34:35], v[138:139], v[180:183]// 0000000069CC: D3D700B4 0ED31522
	v_mfma_i32_16x16x32_i8 v[184:187], a[36:37], v[128:129], 0 // 0000000069D4: D3D700B8 0A030124
	buffer_load_dwordx4 a[4:7], v35, s[12:15], 0 offen         // 0000000069DC: E05C1000 80830423
	v_mfma_i32_16x16x32_i8 v[184:187], a[38:39], v[130:131], v[184:187]// 0000000069E4: D3D700B8 0EE30526
	v_mfma_i32_16x16x32_i8 v[188:191], a[36:37], v[136:137], 0 // 0000000069EC: D3D700BC 0A031124
	v_mfma_i32_16x16x32_i8 v[188:191], a[38:39], v[138:139], v[188:191]// 0000000069F4: D3D700BC 0EF31526
	v_mfma_i32_16x16x32_i8 v[192:195], a[40:41], v[128:129], 0 // 0000000069FC: D3D700C0 0A030128
	buffer_load_dwordx4 a[8:11], v36, s[12:15], 0 offen        // 000000006A04: E05C1000 80830824
	v_mfma_i32_16x16x32_i8 v[192:195], a[42:43], v[130:131], v[192:195]// 000000006A0C: D3D700C0 0F03052A
	v_mfma_i32_16x16x32_i8 v[196:199], a[40:41], v[136:137], 0 // 000000006A14: D3D700C4 0A031128
	v_mfma_i32_16x16x32_i8 v[196:199], a[42:43], v[138:139], v[196:199]// 000000006A1C: D3D700C4 0F13152A
	v_mfma_i32_16x16x32_i8 v[200:203], a[44:45], v[128:129], 0 // 000000006A24: D3D700C8 0A03012C
	buffer_load_dwordx4 a[12:15], v37, s[12:15], 0 offen       // 000000006A2C: E05C1000 80830C25
	s_add_u32 s12, s78, s12                                    // 000000006A34: 800C0C4E
	s_addc_u32 s13, 0, s13                                     // 000000006A38: 820D0D80
	v_mfma_i32_16x16x32_i8 v[200:203], a[46:47], v[130:131], v[200:203]// 000000006A3C: D3D700C8 0F23052E
	v_mfma_i32_16x16x32_i8 v[204:207], a[44:45], v[136:137], 0 // 000000006A44: D3D700CC 0A03112C
	v_mfma_i32_16x16x32_i8 v[204:207], a[46:47], v[138:139], v[204:207]// 000000006A4C: D3D700CC 0F33152E
	s_waitcnt vmcnt(20)                                        // 000000006A54: BF8C4F74
	v_mfma_i32_16x16x32_i8 v[176:179], a[48:49], v[132:133], v[176:179]// 000000006A58: D3D700B0 0EC30930
	buffer_load_dwordx4 a[16:19], v34, s[12:15], 0 offen       // 000000006A60: E05C1000 80831022
	v_mfma_i32_16x16x32_i8 v[176:179], a[50:51], v[134:135], v[176:179]// 000000006A68: D3D700B0 0EC30D32
	v_mfma_i32_16x16x32_i8 v[180:183], a[48:49], v[140:141], v[180:183]// 000000006A70: D3D700B4 0ED31930
	buffer_load_dword v11, v5, s[16:19], 0 offen               // 000000006A78: E0501000 80040B05
	v_mfma_i32_16x16x32_i8 v[180:183], a[50:51], v[142:143], v[180:183]// 000000006A80: D3D700B4 0ED31D32
	v_mfma_i32_16x16x32_i8 v[184:187], a[52:53], v[132:133], v[184:187]// 000000006A88: D3D700B8 0EE30934
	buffer_load_dwordx4 a[20:23], v35, s[12:15], 0 offen       // 000000006A90: E05C1000 80831423
	v_mfma_i32_16x16x32_i8 v[184:187], a[54:55], v[134:135], v[184:187]// 000000006A98: D3D700B8 0EE30D36
	v_mfma_i32_16x16x32_i8 v[188:191], a[52:53], v[140:141], v[188:191]// 000000006AA0: D3D700BC 0EF31934
	v_mfma_i32_16x16x32_i8 v[188:191], a[54:55], v[142:143], v[188:191]// 000000006AA8: D3D700BC 0EF31D36
	v_mfma_i32_16x16x32_i8 v[192:195], a[56:57], v[132:133], v[192:195]// 000000006AB0: D3D700C0 0F030938
	buffer_load_dwordx4 a[24:27], v36, s[12:15], 0 offen       // 000000006AB8: E05C1000 80831824
	v_mfma_i32_16x16x32_i8 v[192:195], a[58:59], v[134:135], v[192:195]// 000000006AC0: D3D700C0 0F030D3A
	v_mfma_i32_16x16x32_i8 v[196:199], a[56:57], v[140:141], v[196:199]// 000000006AC8: D3D700C4 0F131938
	v_mfma_i32_16x16x32_i8 v[196:199], a[58:59], v[142:143], v[196:199]// 000000006AD0: D3D700C4 0F131D3A
	v_mfma_i32_16x16x32_i8 v[200:203], a[60:61], v[132:133], v[200:203]// 000000006AD8: D3D700C8 0F23093C
	buffer_load_dwordx4 a[28:31], v37, s[12:15], 0 offen       // 000000006AE0: E05C1000 80831C25
	v_mfma_i32_16x16x32_i8 v[200:203], a[62:63], v[134:135], v[200:203]// 000000006AE8: D3D700C8 0F230D3E
	v_mfma_i32_16x16x32_i8 v[204:207], a[60:61], v[140:141], v[204:207]// 000000006AF0: D3D700CC 0F33193C
	v_mfma_i32_16x16x32_i8 v[204:207], a[62:63], v[142:143], v[204:207]// 000000006AF8: D3D700CC 0F331D3E
	s_add_u32 s60, 0x200, s80                                  // 000000006B00: 803C50FF 00000200
	s_cmp_lt_u32 s60, s81                                      // 000000006B08: BF0A513C
	s_cselect_b32 s56, s56, 0                                  // 000000006B0C: 85388038
	s_cselect_b32 s78, s78, 0                                  // 000000006B10: 854E804E
	s_cselect_b32 s79, s79, 0                                  // 000000006B14: 854F804F
	s_add_u32 s12, s56, s12                                    // 000000006B18: 800C0C38
	s_addc_u32 s13, 0, s13                                     // 000000006B1C: 820D0D80
	s_add_u32 s16, s79, s16                                    // 000000006B20: 8010104F
	s_addc_u32 s17, 0, s17                                     // 000000006B24: 82111180
	v_cvt_f32_i32_e32 v176, v176                               // 000000006B28: 7F600BB0
	v_cvt_f32_i32_e32 v177, v177                               // 000000006B2C: 7F620BB1
	v_cvt_f32_i32_e32 v178, v178                               // 000000006B30: 7F640BB2
	v_cvt_f32_i32_e32 v179, v179                               // 000000006B34: 7F660BB3
	v_mul_f32_e32 v176, v22, v176                              // 000000006B38: 0B616116
	v_mul_f32_e32 v177, v22, v177                              // 000000006B3C: 0B636316
	v_mul_f32_e32 v178, v22, v178                              // 000000006B40: 0B656516
	v_mul_f32_e32 v179, v22, v179                              // 000000006B44: 0B676716
	v_mul_f32_dpp v176, v12, v176 row_newbcast:0 row_mask:0xf bank_mask:0xf// 000000006B48: 0B6160FA FF01500C
	v_mul_f32_dpp v177, v12, v177 row_newbcast:1 row_mask:0xf bank_mask:0xf// 000000006B50: 0B6362FA FF01510C
	v_mul_f32_dpp v178, v12, v178 row_newbcast:2 row_mask:0xf bank_mask:0xf// 000000006B58: 0B6564FA FF01520C
	v_mul_f32_dpp v179, v12, v179 row_newbcast:3 row_mask:0xf bank_mask:0xf// 000000006B60: 0B6766FA FF01530C
	v_mul_f32_e32 v176, v17, v176                              // 000000006B68: 0B616111
	v_mul_f32_e32 v177, v17, v177                              // 000000006B6C: 0B636311
	v_mul_f32_e32 v178, v17, v178                              // 000000006B70: 0B656511
	v_mul_f32_e32 v179, v17, v179                              // 000000006B74: 0B676711
	v_cvt_f32_i32_e32 v180, v180                               // 000000006B78: 7F680BB4
	v_cvt_f32_i32_e32 v181, v181                               // 000000006B7C: 7F6A0BB5
	v_cvt_f32_i32_e32 v182, v182                               // 000000006B80: 7F6C0BB6
	v_cvt_f32_i32_e32 v183, v183                               // 000000006B84: 7F6E0BB7
	v_mul_f32_e32 v180, v23, v180                              // 000000006B88: 0B696917
	v_mul_f32_e32 v181, v23, v181                              // 000000006B8C: 0B6B6B17
	v_mul_f32_e32 v182, v23, v182                              // 000000006B90: 0B6D6D17
	v_mul_f32_e32 v183, v23, v183                              // 000000006B94: 0B6F6F17
	v_mul_f32_dpp v180, v12, v180 row_newbcast:0 row_mask:0xf bank_mask:0xf// 000000006B98: 0B6968FA FF01500C
	v_mul_f32_dpp v181, v12, v181 row_newbcast:1 row_mask:0xf bank_mask:0xf// 000000006BA0: 0B6B6AFA FF01510C
	v_mul_f32_dpp v182, v12, v182 row_newbcast:2 row_mask:0xf bank_mask:0xf// 000000006BA8: 0B6D6CFA FF01520C
	v_mul_f32_dpp v183, v12, v183 row_newbcast:3 row_mask:0xf bank_mask:0xf// 000000006BB0: 0B6F6EFA FF01530C
	v_mul_f32_e32 v180, v18, v180                              // 000000006BB8: 0B696912
	v_mul_f32_e32 v181, v18, v181                              // 000000006BBC: 0B6B6B12
	v_mul_f32_e32 v182, v18, v182                              // 000000006BC0: 0B6D6D12
	v_mul_f32_e32 v183, v18, v183                              // 000000006BC4: 0B6F6F12
	v_cvt_f32_i32_e32 v184, v184                               // 000000006BC8: 7F700BB8
	v_cvt_f32_i32_e32 v185, v185                               // 000000006BCC: 7F720BB9
	v_cvt_f32_i32_e32 v186, v186                               // 000000006BD0: 7F740BBA
	v_cvt_f32_i32_e32 v187, v187                               // 000000006BD4: 7F760BBB
	v_mul_f32_e32 v184, v22, v184                              // 000000006BD8: 0B717116
	v_mul_f32_e32 v185, v22, v185                              // 000000006BDC: 0B737316
	v_mul_f32_e32 v186, v22, v186                              // 000000006BE0: 0B757516
	v_mul_f32_e32 v187, v22, v187                              // 000000006BE4: 0B777716
	v_mul_f32_dpp v184, v12, v184 row_newbcast:4 row_mask:0xf bank_mask:0xf// 000000006BE8: 0B7170FA FF01540C
	v_mul_f32_dpp v185, v12, v185 row_newbcast:5 row_mask:0xf bank_mask:0xf// 000000006BF0: 0B7372FA FF01550C
	v_mul_f32_dpp v186, v12, v186 row_newbcast:6 row_mask:0xf bank_mask:0xf// 000000006BF8: 0B7574FA FF01560C
	v_mul_f32_dpp v187, v12, v187 row_newbcast:7 row_mask:0xf bank_mask:0xf// 000000006C00: 0B7776FA FF01570C
	v_mul_f32_e32 v184, v17, v184                              // 000000006C08: 0B717111
	v_mul_f32_e32 v185, v17, v185                              // 000000006C0C: 0B737311
	v_mul_f32_e32 v186, v17, v186                              // 000000006C10: 0B757511
	v_mul_f32_e32 v187, v17, v187                              // 000000006C14: 0B777711
	v_cvt_f32_i32_e32 v188, v188                               // 000000006C18: 7F780BBC
	v_cvt_f32_i32_e32 v189, v189                               // 000000006C1C: 7F7A0BBD
	v_cvt_f32_i32_e32 v190, v190                               // 000000006C20: 7F7C0BBE
	v_cvt_f32_i32_e32 v191, v191                               // 000000006C24: 7F7E0BBF
	v_mul_f32_e32 v188, v23, v188                              // 000000006C28: 0B797917
	v_mul_f32_e32 v189, v23, v189                              // 000000006C2C: 0B7B7B17
	v_mul_f32_e32 v190, v23, v190                              // 000000006C30: 0B7D7D17
	v_mul_f32_e32 v191, v23, v191                              // 000000006C34: 0B7F7F17
	v_mul_f32_dpp v188, v12, v188 row_newbcast:4 row_mask:0xf bank_mask:0xf// 000000006C38: 0B7978FA FF01540C
	v_mul_f32_dpp v189, v12, v189 row_newbcast:5 row_mask:0xf bank_mask:0xf// 000000006C40: 0B7B7AFA FF01550C
	v_mul_f32_dpp v190, v12, v190 row_newbcast:6 row_mask:0xf bank_mask:0xf// 000000006C48: 0B7D7CFA FF01560C
	v_mul_f32_dpp v191, v12, v191 row_newbcast:7 row_mask:0xf bank_mask:0xf// 000000006C50: 0B7F7EFA FF01570C
	v_mul_f32_e32 v188, v18, v188                              // 000000006C58: 0B797912
	v_mul_f32_e32 v189, v18, v189                              // 000000006C5C: 0B7B7B12
	v_mul_f32_e32 v190, v18, v190                              // 000000006C60: 0B7D7D12
	v_mul_f32_e32 v191, v18, v191                              // 000000006C64: 0B7F7F12
	v_cvt_f32_i32_e32 v192, v192                               // 000000006C68: 7F800BC0
	v_cvt_f32_i32_e32 v193, v193                               // 000000006C6C: 7F820BC1
	v_cvt_f32_i32_e32 v194, v194                               // 000000006C70: 7F840BC2
	v_cvt_f32_i32_e32 v195, v195                               // 000000006C74: 7F860BC3
	v_mul_f32_e32 v192, v22, v192                              // 000000006C78: 0B818116
	v_mul_f32_e32 v193, v22, v193                              // 000000006C7C: 0B838316
	v_mul_f32_e32 v194, v22, v194                              // 000000006C80: 0B858516
	v_mul_f32_e32 v195, v22, v195                              // 000000006C84: 0B878716
	v_mul_f32_dpp v192, v12, v192 row_newbcast:8 row_mask:0xf bank_mask:0xf// 000000006C88: 0B8180FA FF01580C
	v_mul_f32_dpp v193, v12, v193 row_newbcast:9 row_mask:0xf bank_mask:0xf// 000000006C90: 0B8382FA FF01590C
	v_mul_f32_dpp v194, v12, v194 row_newbcast:10 row_mask:0xf bank_mask:0xf// 000000006C98: 0B8584FA FF015A0C
	v_mul_f32_dpp v195, v12, v195 row_newbcast:11 row_mask:0xf bank_mask:0xf// 000000006CA0: 0B8786FA FF015B0C
	v_mul_f32_e32 v192, v17, v192                              // 000000006CA8: 0B818111
	v_mul_f32_e32 v193, v17, v193                              // 000000006CAC: 0B838311
	v_mul_f32_e32 v194, v17, v194                              // 000000006CB0: 0B858511
	v_mul_f32_e32 v195, v17, v195                              // 000000006CB4: 0B878711
	v_cvt_f32_i32_e32 v196, v196                               // 000000006CB8: 7F880BC4
	v_cvt_f32_i32_e32 v197, v197                               // 000000006CBC: 7F8A0BC5
	v_cvt_f32_i32_e32 v198, v198                               // 000000006CC0: 7F8C0BC6
	v_cvt_f32_i32_e32 v199, v199                               // 000000006CC4: 7F8E0BC7
	v_mul_f32_e32 v196, v23, v196                              // 000000006CC8: 0B898917
	v_mul_f32_e32 v197, v23, v197                              // 000000006CCC: 0B8B8B17
	v_mul_f32_e32 v198, v23, v198                              // 000000006CD0: 0B8D8D17
	v_mul_f32_e32 v199, v23, v199                              // 000000006CD4: 0B8F8F17
	v_mul_f32_dpp v196, v12, v196 row_newbcast:8 row_mask:0xf bank_mask:0xf// 000000006CD8: 0B8988FA FF01580C
	v_mul_f32_dpp v197, v12, v197 row_newbcast:9 row_mask:0xf bank_mask:0xf// 000000006CE0: 0B8B8AFA FF01590C
	v_mul_f32_dpp v198, v12, v198 row_newbcast:10 row_mask:0xf bank_mask:0xf// 000000006CE8: 0B8D8CFA FF015A0C
	v_mul_f32_dpp v199, v12, v199 row_newbcast:11 row_mask:0xf bank_mask:0xf// 000000006CF0: 0B8F8EFA FF015B0C
	v_mul_f32_e32 v196, v18, v196                              // 000000006CF8: 0B898912
	v_mul_f32_e32 v197, v18, v197                              // 000000006CFC: 0B8B8B12
	v_mul_f32_e32 v198, v18, v198                              // 000000006D00: 0B8D8D12
	v_mul_f32_e32 v199, v18, v199                              // 000000006D04: 0B8F8F12
	v_cvt_f32_i32_e32 v200, v200                               // 000000006D08: 7F900BC8
	v_cvt_f32_i32_e32 v201, v201                               // 000000006D0C: 7F920BC9
	v_cvt_f32_i32_e32 v202, v202                               // 000000006D10: 7F940BCA
	v_cvt_f32_i32_e32 v203, v203                               // 000000006D14: 7F960BCB
	v_mul_f32_e32 v200, v22, v200                              // 000000006D18: 0B919116
	v_mul_f32_e32 v201, v22, v201                              // 000000006D1C: 0B939316
	v_mul_f32_e32 v202, v22, v202                              // 000000006D20: 0B959516
	v_mul_f32_e32 v203, v22, v203                              // 000000006D24: 0B979716
	v_mul_f32_dpp v200, v12, v200 row_newbcast:12 row_mask:0xf bank_mask:0xf// 000000006D28: 0B9190FA FF015C0C
	v_mul_f32_dpp v201, v12, v201 row_newbcast:13 row_mask:0xf bank_mask:0xf// 000000006D30: 0B9392FA FF015D0C
	v_mul_f32_dpp v202, v12, v202 row_newbcast:14 row_mask:0xf bank_mask:0xf// 000000006D38: 0B9594FA FF015E0C
	v_mul_f32_dpp v203, v12, v203 row_newbcast:15 row_mask:0xf bank_mask:0xf// 000000006D40: 0B9796FA FF015F0C
	v_mul_f32_e32 v200, v17, v200                              // 000000006D48: 0B919111
	v_mul_f32_e32 v201, v17, v201                              // 000000006D4C: 0B939311
	v_mul_f32_e32 v202, v17, v202                              // 000000006D50: 0B959511
	v_mul_f32_e32 v203, v17, v203                              // 000000006D54: 0B979711
	v_cvt_f32_i32_e32 v204, v204                               // 000000006D58: 7F980BCC
	v_cvt_f32_i32_e32 v205, v205                               // 000000006D5C: 7F9A0BCD
	v_cvt_f32_i32_e32 v206, v206                               // 000000006D60: 7F9C0BCE
	v_cvt_f32_i32_e32 v207, v207                               // 000000006D64: 7F9E0BCF
	v_mul_f32_e32 v204, v23, v204                              // 000000006D68: 0B999917
	v_mul_f32_e32 v205, v23, v205                              // 000000006D6C: 0B9B9B17
	v_mul_f32_e32 v206, v23, v206                              // 000000006D70: 0B9D9D17
	v_mul_f32_e32 v207, v23, v207                              // 000000006D74: 0B9F9F17
	v_mul_f32_dpp v204, v12, v204 row_newbcast:12 row_mask:0xf bank_mask:0xf// 000000006D78: 0B9998FA FF015C0C
	v_mul_f32_dpp v205, v12, v205 row_newbcast:13 row_mask:0xf bank_mask:0xf// 000000006D80: 0B9B9AFA FF015D0C
	v_mul_f32_dpp v206, v12, v206 row_newbcast:14 row_mask:0xf bank_mask:0xf// 000000006D88: 0B9D9CFA FF015E0C
	v_mul_f32_dpp v207, v12, v207 row_newbcast:15 row_mask:0xf bank_mask:0xf// 000000006D90: 0B9F9EFA FF015F0C
	v_mul_f32_e32 v204, v18, v204                              // 000000006D98: 0B999912
	v_mul_f32_e32 v205, v18, v205                              // 000000006D9C: 0B9B9B12
	v_mul_f32_e32 v206, v18, v206                              // 000000006DA0: 0B9D9D12
	v_mul_f32_e32 v207, v18, v207                              // 000000006DA4: 0B9F9F12
	v_cmp_u_f32_e64 s[48:49], v176, v176                       // 000000006DA8: D0480030 000361B0
	v_add3_u32 v38, v176, v41, 1                               // 000000006DB0: D1FF0026 020653B0
	v_cndmask_b32_e64 v42, v38, v40, s[48:49]                  // 000000006DB8: D100002A 00C25126
	v_cmp_u_f32_e64 s[48:49], v177, v177                       // 000000006DC0: D0480030 000363B1
	v_add3_u32 v38, v177, v41, 1                               // 000000006DC8: D1FF0026 020653B1
	v_cndmask_b32_e64 v43, v38, v40, s[48:49]                  // 000000006DD0: D100002B 00C25126
	v_perm_b32 v176, v43, v42, s52                             // 000000006DD8: D1ED00B0 00D2552B
	v_cmp_u_f32_e64 s[48:49], v178, v178                       // 000000006DE0: D0480030 000365B2
	v_add3_u32 v38, v178, v41, 1                               // 000000006DE8: D1FF0026 020653B2
	v_cndmask_b32_e64 v42, v38, v40, s[48:49]                  // 000000006DF0: D100002A 00C25126
	v_cmp_u_f32_e64 s[48:49], v179, v179                       // 000000006DF8: D0480030 000367B3
	v_add3_u32 v38, v179, v41, 1                               // 000000006E00: D1FF0026 020653B3
	v_cndmask_b32_e64 v43, v38, v40, s[48:49]                  // 000000006E08: D100002B 00C25126
	v_perm_b32 v177, v43, v42, s52                             // 000000006E10: D1ED00B1 00D2552B
	v_cmp_u_f32_e64 s[48:49], v180, v180                       // 000000006E18: D0480030 000369B4
	v_add3_u32 v38, v180, v41, 1                               // 000000006E20: D1FF0026 020653B4
	v_cndmask_b32_e64 v42, v38, v40, s[48:49]                  // 000000006E28: D100002A 00C25126
	v_cmp_u_f32_e64 s[48:49], v181, v181                       // 000000006E30: D0480030 00036BB5
	v_add3_u32 v38, v181, v41, 1                               // 000000006E38: D1FF0026 020653B5
	v_cndmask_b32_e64 v43, v38, v40, s[48:49]                  // 000000006E40: D100002B 00C25126
	v_perm_b32 v178, v43, v42, s52                             // 000000006E48: D1ED00B2 00D2552B
	v_cmp_u_f32_e64 s[48:49], v182, v182                       // 000000006E50: D0480030 00036DB6
	v_add3_u32 v38, v182, v41, 1                               // 000000006E58: D1FF0026 020653B6
	v_cndmask_b32_e64 v42, v38, v40, s[48:49]                  // 000000006E60: D100002A 00C25126
	v_cmp_u_f32_e64 s[48:49], v183, v183                       // 000000006E68: D0480030 00036FB7
	v_add3_u32 v38, v183, v41, 1                               // 000000006E70: D1FF0026 020653B7
	v_cndmask_b32_e64 v43, v38, v40, s[48:49]                  // 000000006E78: D100002B 00C25126
	v_perm_b32 v179, v43, v42, s52                             // 000000006E80: D1ED00B3 00D2552B
	v_cmp_u_f32_e64 s[48:49], v184, v184                       // 000000006E88: D0480030 000371B8
	v_add3_u32 v38, v184, v41, 1                               // 000000006E90: D1FF0026 020653B8
	v_cndmask_b32_e64 v42, v38, v40, s[48:49]                  // 000000006E98: D100002A 00C25126
	v_cmp_u_f32_e64 s[48:49], v185, v185                       // 000000006EA0: D0480030 000373B9
	v_add3_u32 v38, v185, v41, 1                               // 000000006EA8: D1FF0026 020653B9
	v_cndmask_b32_e64 v43, v38, v40, s[48:49]                  // 000000006EB0: D100002B 00C25126
	v_perm_b32 v180, v43, v42, s52                             // 000000006EB8: D1ED00B4 00D2552B
	v_cmp_u_f32_e64 s[48:49], v186, v186                       // 000000006EC0: D0480030 000375BA
	v_add3_u32 v38, v186, v41, 1                               // 000000006EC8: D1FF0026 020653BA
	v_cndmask_b32_e64 v42, v38, v40, s[48:49]                  // 000000006ED0: D100002A 00C25126
	v_cmp_u_f32_e64 s[48:49], v187, v187                       // 000000006ED8: D0480030 000377BB
	v_add3_u32 v38, v187, v41, 1                               // 000000006EE0: D1FF0026 020653BB
	v_cndmask_b32_e64 v43, v38, v40, s[48:49]                  // 000000006EE8: D100002B 00C25126
	v_perm_b32 v181, v43, v42, s52                             // 000000006EF0: D1ED00B5 00D2552B
	v_cmp_u_f32_e64 s[48:49], v188, v188                       // 000000006EF8: D0480030 000379BC
	v_add3_u32 v38, v188, v41, 1                               // 000000006F00: D1FF0026 020653BC
	v_cndmask_b32_e64 v42, v38, v40, s[48:49]                  // 000000006F08: D100002A 00C25126
	v_cmp_u_f32_e64 s[48:49], v189, v189                       // 000000006F10: D0480030 00037BBD
	v_add3_u32 v38, v189, v41, 1                               // 000000006F18: D1FF0026 020653BD
	v_cndmask_b32_e64 v43, v38, v40, s[48:49]                  // 000000006F20: D100002B 00C25126
	v_perm_b32 v182, v43, v42, s52                             // 000000006F28: D1ED00B6 00D2552B
	v_cmp_u_f32_e64 s[48:49], v190, v190                       // 000000006F30: D0480030 00037DBE
	v_add3_u32 v38, v190, v41, 1                               // 000000006F38: D1FF0026 020653BE
	v_cndmask_b32_e64 v42, v38, v40, s[48:49]                  // 000000006F40: D100002A 00C25126
	v_cmp_u_f32_e64 s[48:49], v191, v191                       // 000000006F48: D0480030 00037FBF
	v_add3_u32 v38, v191, v41, 1                               // 000000006F50: D1FF0026 020653BF
	v_cndmask_b32_e64 v43, v38, v40, s[48:49]                  // 000000006F58: D100002B 00C25126
	v_perm_b32 v183, v43, v42, s52                             // 000000006F60: D1ED00B7 00D2552B
	v_cmp_u_f32_e64 s[48:49], v192, v192                       // 000000006F68: D0480030 000381C0
	v_add3_u32 v38, v192, v41, 1                               // 000000006F70: D1FF0026 020653C0
	v_cndmask_b32_e64 v42, v38, v40, s[48:49]                  // 000000006F78: D100002A 00C25126
	v_cmp_u_f32_e64 s[48:49], v193, v193                       // 000000006F80: D0480030 000383C1
	v_add3_u32 v38, v193, v41, 1                               // 000000006F88: D1FF0026 020653C1
	v_cndmask_b32_e64 v43, v38, v40, s[48:49]                  // 000000006F90: D100002B 00C25126
	v_perm_b32 v184, v43, v42, s52                             // 000000006F98: D1ED00B8 00D2552B
	v_cmp_u_f32_e64 s[48:49], v194, v194                       // 000000006FA0: D0480030 000385C2
	v_add3_u32 v38, v194, v41, 1                               // 000000006FA8: D1FF0026 020653C2
	v_cndmask_b32_e64 v42, v38, v40, s[48:49]                  // 000000006FB0: D100002A 00C25126
	v_cmp_u_f32_e64 s[48:49], v195, v195                       // 000000006FB8: D0480030 000387C3
	v_add3_u32 v38, v195, v41, 1                               // 000000006FC0: D1FF0026 020653C3
	v_cndmask_b32_e64 v43, v38, v40, s[48:49]                  // 000000006FC8: D100002B 00C25126
	v_perm_b32 v185, v43, v42, s52                             // 000000006FD0: D1ED00B9 00D2552B
	v_cmp_u_f32_e64 s[48:49], v196, v196                       // 000000006FD8: D0480030 000389C4
	v_add3_u32 v38, v196, v41, 1                               // 000000006FE0: D1FF0026 020653C4
	v_cndmask_b32_e64 v42, v38, v40, s[48:49]                  // 000000006FE8: D100002A 00C25126
	v_cmp_u_f32_e64 s[48:49], v197, v197                       // 000000006FF0: D0480030 00038BC5
	v_add3_u32 v38, v197, v41, 1                               // 000000006FF8: D1FF0026 020653C5
	v_cndmask_b32_e64 v43, v38, v40, s[48:49]                  // 000000007000: D100002B 00C25126
	v_perm_b32 v186, v43, v42, s52                             // 000000007008: D1ED00BA 00D2552B
	v_cmp_u_f32_e64 s[48:49], v198, v198                       // 000000007010: D0480030 00038DC6
	v_add3_u32 v38, v198, v41, 1                               // 000000007018: D1FF0026 020653C6
	v_cndmask_b32_e64 v42, v38, v40, s[48:49]                  // 000000007020: D100002A 00C25126
	v_cmp_u_f32_e64 s[48:49], v199, v199                       // 000000007028: D0480030 00038FC7
	v_add3_u32 v38, v199, v41, 1                               // 000000007030: D1FF0026 020653C7
	v_cndmask_b32_e64 v43, v38, v40, s[48:49]                  // 000000007038: D100002B 00C25126
	v_perm_b32 v187, v43, v42, s52                             // 000000007040: D1ED00BB 00D2552B
	v_cmp_u_f32_e64 s[48:49], v200, v200                       // 000000007048: D0480030 000391C8
	v_add3_u32 v38, v200, v41, 1                               // 000000007050: D1FF0026 020653C8
	v_cndmask_b32_e64 v42, v38, v40, s[48:49]                  // 000000007058: D100002A 00C25126
	v_cmp_u_f32_e64 s[48:49], v201, v201                       // 000000007060: D0480030 000393C9
	v_add3_u32 v38, v201, v41, 1                               // 000000007068: D1FF0026 020653C9
	v_cndmask_b32_e64 v43, v38, v40, s[48:49]                  // 000000007070: D100002B 00C25126
	v_perm_b32 v188, v43, v42, s52                             // 000000007078: D1ED00BC 00D2552B
	v_cmp_u_f32_e64 s[48:49], v202, v202                       // 000000007080: D0480030 000395CA
	v_add3_u32 v38, v202, v41, 1                               // 000000007088: D1FF0026 020653CA
	v_cndmask_b32_e64 v42, v38, v40, s[48:49]                  // 000000007090: D100002A 00C25126
	v_cmp_u_f32_e64 s[48:49], v203, v203                       // 000000007098: D0480030 000397CB
	v_add3_u32 v38, v203, v41, 1                               // 0000000070A0: D1FF0026 020653CB
	v_cndmask_b32_e64 v43, v38, v40, s[48:49]                  // 0000000070A8: D100002B 00C25126
	v_perm_b32 v189, v43, v42, s52                             // 0000000070B0: D1ED00BD 00D2552B
	v_cmp_u_f32_e64 s[48:49], v204, v204                       // 0000000070B8: D0480030 000399CC
	v_add3_u32 v38, v204, v41, 1                               // 0000000070C0: D1FF0026 020653CC
	v_cndmask_b32_e64 v42, v38, v40, s[48:49]                  // 0000000070C8: D100002A 00C25126
	v_cmp_u_f32_e64 s[48:49], v205, v205                       // 0000000070D0: D0480030 00039BCD
	v_add3_u32 v38, v205, v41, 1                               // 0000000070D8: D1FF0026 020653CD
	v_cndmask_b32_e64 v43, v38, v40, s[48:49]                  // 0000000070E0: D100002B 00C25126
	v_perm_b32 v190, v43, v42, s52                             // 0000000070E8: D1ED00BE 00D2552B
	v_cmp_u_f32_e64 s[48:49], v206, v206                       // 0000000070F0: D0480030 00039DCE
	v_add3_u32 v38, v206, v41, 1                               // 0000000070F8: D1FF0026 020653CE
	v_cndmask_b32_e64 v42, v38, v40, s[48:49]                  // 000000007100: D100002A 00C25126
	v_cmp_u_f32_e64 s[48:49], v207, v207                       // 000000007108: D0480030 00039FCF
	v_add3_u32 v38, v207, v41, 1                               // 000000007110: D1FF0026 020653CF
	v_cndmask_b32_e64 v43, v38, v40, s[48:49]                  // 000000007118: D100002B 00C25126
	v_perm_b32 v191, v43, v42, s52                             // 000000007120: D1ED00BF 00D2552B
	ds_write_b64 v3, v[176:177] offset:22784                   // 000000007128: D89A5900 0000B003
	ds_write_b64 v3, v[178:179] offset:31488                   // 000000007130: D89A7B00 0000B203
	ds_write_b64 v3, v[180:181] offset:24960                   // 000000007138: D89A6180 0000B403
	ds_write_b64 v3, v[182:183] offset:33664                   // 000000007140: D89A8380 0000B603
	ds_write_b64 v3, v[184:185] offset:27136                   // 000000007148: D89A6A00 0000B803
	ds_write_b64 v3, v[186:187] offset:35840                   // 000000007150: D89A8C00 0000BA03
	ds_write_b64 v3, v[188:189] offset:29312                   // 000000007158: D89A7280 0000BC03
	ds_write_b64 v3, v[190:191] offset:38016                   // 000000007160: D89A9480 0000BE03
	s_waitcnt lgkmcnt(0)                                       // 000000007168: BF8CC07F
	s_barrier                                                  // 00000000716C: BF8A0000
	ds_read_b32 v64, v4 offset:22784                           // 000000007170: D86C5900 40000004
	ds_read_b32 v65, v4 offset:27136                           // 000000007178: D86C6A00 41000004
	ds_read_b32 v66, v4 offset:22816                           // 000000007180: D86C5920 42000004
	ds_read_b32 v67, v4 offset:27168                           // 000000007188: D86C6A20 43000004
	ds_read_b32 v68, v4 offset:22848                           // 000000007190: D86C5940 44000004
	ds_read_b32 v69, v4 offset:27200                           // 000000007198: D86C6A40 45000004
	ds_read_b32 v70, v4 offset:22880                           // 0000000071A0: D86C5960 46000004
	ds_read_b32 v71, v4 offset:27232                           // 0000000071A8: D86C6A60 47000004
	ds_read_b32 v72, v4 offset:31488                           // 0000000071B0: D86C7B00 48000004
	ds_read_b32 v73, v4 offset:35840                           // 0000000071B8: D86C8C00 49000004
	ds_read_b32 v74, v4 offset:31520                           // 0000000071C0: D86C7B20 4A000004
	ds_read_b32 v75, v4 offset:35872                           // 0000000071C8: D86C8C20 4B000004
	ds_read_b32 v76, v4 offset:31552                           // 0000000071D0: D86C7B40 4C000004
	ds_read_b32 v77, v4 offset:35904                           // 0000000071D8: D86C8C40 4D000004
	ds_read_b32 v78, v4 offset:31584                           // 0000000071E0: D86C7B60 4E000004
	ds_read_b32 v79, v4 offset:35936                           // 0000000071E8: D86C8C60 4F000004
	s_waitcnt lgkmcnt(0)                                       // 0000000071F0: BF8CC07F
	s_mov_b64 exec, s[20:21]                                   // 0000000071F4: BEFE0114
	global_atomic_pk_add_bf16 v80, v64, s[8:9]                 // 0000000071F8: DD488000 00084050
	s_mov_b64 exec, s[36:37]                                   // 000000007200: BEFE0124
	s_mov_b64 exec, s[20:21]                                   // 000000007204: BEFE0114
	global_atomic_pk_add_bf16 v80, v65, s[8:9] offset:256      // 000000007208: DD488100 00084150
	s_mov_b64 exec, s[36:37]                                   // 000000007210: BEFE0124
	s_mov_b64 exec, s[22:23]                                   // 000000007214: BEFE0116
	global_atomic_pk_add_bf16 v82, v66, s[8:9]                 // 000000007218: DD488000 00084252
	s_mov_b64 exec, s[36:37]                                   // 000000007220: BEFE0124
	s_mov_b64 exec, s[22:23]                                   // 000000007224: BEFE0116
	global_atomic_pk_add_bf16 v82, v67, s[8:9] offset:256      // 000000007228: DD488100 00084352
	s_mov_b64 exec, s[36:37]                                   // 000000007230: BEFE0124
	s_mov_b64 exec, s[24:25]                                   // 000000007234: BEFE0118
	global_atomic_pk_add_bf16 v84, v68, s[8:9]                 // 000000007238: DD488000 00084454
	s_mov_b64 exec, s[36:37]                                   // 000000007240: BEFE0124
	s_mov_b64 exec, s[24:25]                                   // 000000007244: BEFE0118
	global_atomic_pk_add_bf16 v84, v69, s[8:9] offset:256      // 000000007248: DD488100 00084554
	s_mov_b64 exec, s[36:37]                                   // 000000007250: BEFE0124
	s_mov_b64 exec, s[26:27]                                   // 000000007254: BEFE011A
	global_atomic_pk_add_bf16 v86, v70, s[8:9]                 // 000000007258: DD488000 00084656
	s_mov_b64 exec, s[36:37]                                   // 000000007260: BEFE0124
	s_mov_b64 exec, s[26:27]                                   // 000000007264: BEFE011A
	global_atomic_pk_add_bf16 v86, v71, s[8:9] offset:256      // 000000007268: DD488100 00084756
	s_mov_b64 exec, s[36:37]                                   // 000000007270: BEFE0124
	s_mov_b64 exec, s[28:29]                                   // 000000007274: BEFE011C
	global_atomic_pk_add_bf16 v88, v72, s[8:9]                 // 000000007278: DD488000 00084858
	s_mov_b64 exec, s[36:37]                                   // 000000007280: BEFE0124
	s_mov_b64 exec, s[28:29]                                   // 000000007284: BEFE011C
	global_atomic_pk_add_bf16 v88, v73, s[8:9] offset:256      // 000000007288: DD488100 00084958
	s_mov_b64 exec, s[36:37]                                   // 000000007290: BEFE0124
	s_mov_b64 exec, s[30:31]                                   // 000000007294: BEFE011E
	global_atomic_pk_add_bf16 v90, v74, s[8:9]                 // 000000007298: DD488000 00084A5A
	s_mov_b64 exec, s[36:37]                                   // 0000000072A0: BEFE0124
	s_mov_b64 exec, s[30:31]                                   // 0000000072A4: BEFE011E
	global_atomic_pk_add_bf16 v90, v75, s[8:9] offset:256      // 0000000072A8: DD488100 00084B5A
	s_mov_b64 exec, s[36:37]                                   // 0000000072B0: BEFE0124
	s_mov_b64 exec, s[32:33]                                   // 0000000072B4: BEFE0120
	global_atomic_pk_add_bf16 v92, v76, s[8:9]                 // 0000000072B8: DD488000 00084C5C
	s_mov_b64 exec, s[36:37]                                   // 0000000072C0: BEFE0124
	s_mov_b64 exec, s[32:33]                                   // 0000000072C4: BEFE0120
	global_atomic_pk_add_bf16 v92, v77, s[8:9] offset:256      // 0000000072C8: DD488100 00084D5C
	s_mov_b64 exec, s[36:37]                                   // 0000000072D0: BEFE0124
	s_mov_b64 exec, s[34:35]                                   // 0000000072D4: BEFE0122
	global_atomic_pk_add_bf16 v94, v78, s[8:9]                 // 0000000072D8: DD488000 00084E5E
	s_mov_b64 exec, s[36:37]                                   // 0000000072E0: BEFE0124
	s_mov_b64 exec, s[34:35]                                   // 0000000072E4: BEFE0122
	global_atomic_pk_add_bf16 v94, v79, s[8:9] offset:256      // 0000000072E8: DD488100 00084F5E
	s_mov_b64 exec, s[36:37]                                   // 0000000072F0: BEFE0124
	s_add_u32 s8, s59, s8                                      // 0000000072F4: 8008083B
	s_addc_u32 s9, 0, s9                                       // 0000000072F8: 82090980
	s_addk_i32 s80, 0x100                                      // 0000000072FC: B7500100
	s_cmp_lt_i32 s80, s81                                      // 000000007300: BF045150
	s_cbranch_scc0 label_0A21                                  // 000000007304: BF84F81F
	s_branch label_0D50                                        // 000000007308: BF82FB4D

000000000000730c <label_1203>:
	s_waitcnt vmcnt(0) expcnt(0) lgkmcnt(0)                    // 00000000730C: BF8C0000
	s_endpgm                                                   // 000000007310: BF810000
